;; amdgpu-corpus repo=zjin-lcf/HeCBench kind=compiled arch=gfx1250 opt=O3
	.amdgcn_target "amdgcn-amd-amdhsa--gfx1250"
	.amdhsa_code_object_version 6
	.text
	.protected	_Z21gpu_apply_hamiltonianidPKiS0_PKdS2_S2_S2_S2_PdS3_ ; -- Begin function _Z21gpu_apply_hamiltonianidPKiS0_PKdS2_S2_S2_S2_PdS3_
	.globl	_Z21gpu_apply_hamiltonianidPKiS0_PKdS2_S2_S2_S2_PdS3_
	.p2align	8
	.type	_Z21gpu_apply_hamiltonianidPKiS0_PKdS2_S2_S2_S2_PdS3_,@function
_Z21gpu_apply_hamiltonianidPKiS0_PKdS2_S2_S2_S2_PdS3_: ; @_Z21gpu_apply_hamiltonianidPKiS0_PKdS2_S2_S2_S2_PdS3_
; %bb.0:
	s_clause 0x1
	s_load_b32 s2, s[0:1], 0x64
	s_load_b32 s12, s[0:1], 0x0
	s_bfe_u32 s3, ttmp6, 0x4000c
	s_and_b32 s4, ttmp6, 15
	s_add_co_i32 s3, s3, 1
	s_getreg_b32 s5, hwreg(HW_REG_IB_STS2, 6, 4)
	s_mul_i32 s3, ttmp9, s3
	s_delay_alu instid0(SALU_CYCLE_1) | instskip(SKIP_4) | instid1(SALU_CYCLE_1)
	s_add_co_i32 s4, s4, s3
	s_wait_kmcnt 0x0
	s_and_b32 s2, s2, 0xffff
	s_cmp_eq_u32 s5, 0
	s_cselect_b32 s3, ttmp9, s4
	v_mad_u32 v0, s3, s2, v0
	s_mov_b32 s2, exec_lo
	s_delay_alu instid0(VALU_DEP_1)
	v_cmpx_gt_i32_e64 s12, v0
	s_cbranch_execz .LBB0_6
; %bb.1:
	s_clause 0x1
	s_load_b64 s[2:3], s[0:1], 0x20
	s_load_b128 s[4:7], s[0:1], 0x38
	s_mov_b32 s13, exec_lo
	s_wait_kmcnt 0x0
	s_clause 0x2
	global_load_b64 v[4:5], v0, s[2:3] scale_offset
	global_load_b64 v[2:3], v0, s[4:5] scale_offset
	;; [unrolled: 1-line block ×3, first 2 shown]
	s_wait_xcnt 0x2
	s_load_b64 s[2:3], s[0:1], 0x10
	v_ashrrev_i32_e32 v1, 31, v0
	s_wait_kmcnt 0x0
	global_load_b32 v6, v0, s[2:3] scale_offset
	s_wait_loadcnt 0x2
	v_mul_f64_e32 v[2:3], v[4:5], v[2:3]
	s_wait_loadcnt 0x1
	v_mul_f64_e32 v[4:5], v[4:5], v[8:9]
	s_wait_loadcnt 0x0
	v_cmpx_lt_i32_e32 0, v6
	s_cbranch_execz .LBB0_5
; %bb.2:
	s_clause 0x1
	s_load_b64 s[2:3], s[0:1], 0x18
	s_load_b128 s[8:11], s[0:1], 0x28
	v_mov_b32_e32 v7, v0
	s_mov_b32 s14, 0
.LBB0_3:                                ; =>This Inner Loop Header: Depth=1
	s_wait_kmcnt 0x0
	s_clause 0x2
	global_load_b32 v16, v7, s[2:3] scale_offset
	global_load_b64 v[8:9], v7, s[8:9] scale_offset
	global_load_b64 v[10:11], v7, s[10:11] scale_offset
	s_wait_loadcnt 0x2
	s_clause 0x1
	global_load_b64 v[12:13], v16, s[6:7] scale_offset
	global_load_b64 v[14:15], v16, s[4:5] scale_offset
	s_wait_xcnt 0x2
	v_dual_add_nc_u32 v6, -1, v6 :: v_dual_add_nc_u32 v7, s12, v7
	s_delay_alu instid0(VALU_DEP_1)
	v_cmp_eq_u32_e32 vcc_lo, 0, v6
	s_or_b32 s14, vcc_lo, s14
	s_wait_loadcnt 0x1
	s_wait_xcnt 0x0
	v_mul_f64_e32 v[16:17], v[10:11], v[12:13]
	v_mul_f64_e32 v[12:13], v[8:9], v[12:13]
	s_wait_loadcnt 0x0
	s_delay_alu instid0(VALU_DEP_2) | instskip(NEXT) | instid1(VALU_DEP_2)
	v_fma_f64 v[8:9], v[8:9], v[14:15], -v[16:17]
	v_fmac_f64_e32 v[12:13], v[10:11], v[14:15]
	s_delay_alu instid0(VALU_DEP_2) | instskip(NEXT) | instid1(VALU_DEP_2)
	v_add_f64_e32 v[2:3], v[2:3], v[8:9]
	v_add_f64_e32 v[4:5], v[4:5], v[12:13]
	s_and_not1_b32 exec_lo, exec_lo, s14
	s_cbranch_execnz .LBB0_3
; %bb.4:
	s_or_b32 exec_lo, exec_lo, s14
.LBB0_5:
	s_delay_alu instid0(SALU_CYCLE_1)
	s_or_b32 exec_lo, exec_lo, s13
	s_clause 0x1
	s_load_b128 s[4:7], s[0:1], 0x48
	s_load_b64 s[2:3], s[0:1], 0x8
	v_lshlrev_b64_e32 v[0:1], 3, v[0:1]
	s_wait_kmcnt 0x0
	s_delay_alu instid0(VALU_DEP_3) | instskip(NEXT) | instid1(VALU_DEP_3)
	v_div_scale_f64 v[6:7], null, s[2:3], s[2:3], v[2:3]
	v_div_scale_f64 v[8:9], null, s[2:3], s[2:3], v[4:5]
	v_div_scale_f64 v[18:19], vcc_lo, v[2:3], s[2:3], v[2:3]
	s_delay_alu instid0(VALU_DEP_3) | instskip(NEXT) | instid1(VALU_DEP_2)
	v_rcp_f64_e32 v[10:11], v[6:7]
	v_rcp_f64_e32 v[12:13], v[8:9]
	s_delay_alu instid0(TRANS32_DEP_2) | instskip(NEXT) | instid1(TRANS32_DEP_1)
	v_fma_f64 v[14:15], -v[6:7], v[10:11], 1.0
	v_fma_f64 v[16:17], -v[8:9], v[12:13], 1.0
	s_delay_alu instid0(VALU_DEP_2) | instskip(NEXT) | instid1(VALU_DEP_2)
	v_fmac_f64_e32 v[10:11], v[10:11], v[14:15]
	v_fmac_f64_e32 v[12:13], v[12:13], v[16:17]
	s_delay_alu instid0(VALU_DEP_2) | instskip(NEXT) | instid1(VALU_DEP_2)
	v_fma_f64 v[14:15], -v[6:7], v[10:11], 1.0
	v_fma_f64 v[16:17], -v[8:9], v[12:13], 1.0
	s_delay_alu instid0(VALU_DEP_2) | instskip(SKIP_1) | instid1(VALU_DEP_3)
	v_fmac_f64_e32 v[10:11], v[10:11], v[14:15]
	v_div_scale_f64 v[14:15], s0, v[4:5], s[2:3], v[4:5]
	v_fmac_f64_e32 v[12:13], v[12:13], v[16:17]
	s_delay_alu instid0(VALU_DEP_3) | instskip(NEXT) | instid1(VALU_DEP_2)
	v_mul_f64_e32 v[16:17], v[18:19], v[10:11]
	v_mul_f64_e32 v[20:21], v[14:15], v[12:13]
	s_delay_alu instid0(VALU_DEP_2) | instskip(NEXT) | instid1(VALU_DEP_2)
	v_fma_f64 v[6:7], -v[6:7], v[16:17], v[18:19]
	v_fma_f64 v[8:9], -v[8:9], v[20:21], v[14:15]
	s_delay_alu instid0(VALU_DEP_2) | instskip(SKIP_1) | instid1(VALU_DEP_2)
	v_div_fmas_f64 v[6:7], v[6:7], v[10:11], v[16:17]
	s_mov_b32 vcc_lo, s0
	v_div_fmas_f64 v[8:9], v[8:9], v[12:13], v[20:21]
	s_delay_alu instid0(VALU_DEP_2) | instskip(SKIP_2) | instid1(VALU_DEP_4)
	v_div_fixup_f64 v[2:3], v[6:7], s[2:3], v[2:3]
	v_add_nc_u64_e32 v[6:7], s[4:5], v[0:1]
	v_add_nc_u64_e32 v[0:1], s[6:7], v[0:1]
	v_div_fixup_f64 v[4:5], v[8:9], s[2:3], v[4:5]
	global_store_b64 v[6:7], v[2:3], off
	global_store_b64 v[0:1], v[4:5], off
.LBB0_6:
	s_endpgm
	.section	.rodata,"a",@progbits
	.p2align	6, 0x0
	.amdhsa_kernel _Z21gpu_apply_hamiltonianidPKiS0_PKdS2_S2_S2_S2_PdS3_
		.amdhsa_group_segment_fixed_size 0
		.amdhsa_private_segment_fixed_size 0
		.amdhsa_kernarg_size 344
		.amdhsa_user_sgpr_count 2
		.amdhsa_user_sgpr_dispatch_ptr 0
		.amdhsa_user_sgpr_queue_ptr 0
		.amdhsa_user_sgpr_kernarg_segment_ptr 1
		.amdhsa_user_sgpr_dispatch_id 0
		.amdhsa_user_sgpr_kernarg_preload_length 0
		.amdhsa_user_sgpr_kernarg_preload_offset 0
		.amdhsa_user_sgpr_private_segment_size 0
		.amdhsa_wavefront_size32 1
		.amdhsa_uses_dynamic_stack 0
		.amdhsa_enable_private_segment 0
		.amdhsa_system_sgpr_workgroup_id_x 1
		.amdhsa_system_sgpr_workgroup_id_y 0
		.amdhsa_system_sgpr_workgroup_id_z 0
		.amdhsa_system_sgpr_workgroup_info 0
		.amdhsa_system_vgpr_workitem_id 0
		.amdhsa_next_free_vgpr 22
		.amdhsa_next_free_sgpr 15
		.amdhsa_named_barrier_count 0
		.amdhsa_reserve_vcc 1
		.amdhsa_float_round_mode_32 0
		.amdhsa_float_round_mode_16_64 0
		.amdhsa_float_denorm_mode_32 3
		.amdhsa_float_denorm_mode_16_64 3
		.amdhsa_fp16_overflow 0
		.amdhsa_memory_ordered 1
		.amdhsa_forward_progress 1
		.amdhsa_inst_pref_size 6
		.amdhsa_round_robin_scheduling 0
		.amdhsa_exception_fp_ieee_invalid_op 0
		.amdhsa_exception_fp_denorm_src 0
		.amdhsa_exception_fp_ieee_div_zero 0
		.amdhsa_exception_fp_ieee_overflow 0
		.amdhsa_exception_fp_ieee_underflow 0
		.amdhsa_exception_fp_ieee_inexact 0
		.amdhsa_exception_int_div_zero 0
	.end_amdhsa_kernel
	.text
.Lfunc_end0:
	.size	_Z21gpu_apply_hamiltonianidPKiS0_PKdS2_S2_S2_S2_PdS3_, .Lfunc_end0-_Z21gpu_apply_hamiltonianidPKiS0_PKdS2_S2_S2_S2_PdS3_
                                        ; -- End function
	.set _Z21gpu_apply_hamiltonianidPKiS0_PKdS2_S2_S2_S2_PdS3_.num_vgpr, 22
	.set _Z21gpu_apply_hamiltonianidPKiS0_PKdS2_S2_S2_S2_PdS3_.num_agpr, 0
	.set _Z21gpu_apply_hamiltonianidPKiS0_PKdS2_S2_S2_S2_PdS3_.numbered_sgpr, 15
	.set _Z21gpu_apply_hamiltonianidPKiS0_PKdS2_S2_S2_S2_PdS3_.num_named_barrier, 0
	.set _Z21gpu_apply_hamiltonianidPKiS0_PKdS2_S2_S2_S2_PdS3_.private_seg_size, 0
	.set _Z21gpu_apply_hamiltonianidPKiS0_PKdS2_S2_S2_S2_PdS3_.uses_vcc, 1
	.set _Z21gpu_apply_hamiltonianidPKiS0_PKdS2_S2_S2_S2_PdS3_.uses_flat_scratch, 0
	.set _Z21gpu_apply_hamiltonianidPKiS0_PKdS2_S2_S2_S2_PdS3_.has_dyn_sized_stack, 0
	.set _Z21gpu_apply_hamiltonianidPKiS0_PKdS2_S2_S2_S2_PdS3_.has_recursion, 0
	.set _Z21gpu_apply_hamiltonianidPKiS0_PKdS2_S2_S2_S2_PdS3_.has_indirect_call, 0
	.section	.AMDGPU.csdata,"",@progbits
; Kernel info:
; codeLenInByte = 680
; TotalNumSgprs: 17
; NumVgprs: 22
; ScratchSize: 0
; MemoryBound: 0
; FloatMode: 240
; IeeeMode: 1
; LDSByteSize: 0 bytes/workgroup (compile time only)
; SGPRBlocks: 0
; VGPRBlocks: 1
; NumSGPRsForWavesPerEU: 17
; NumVGPRsForWavesPerEU: 22
; NamedBarCnt: 0
; Occupancy: 16
; WaveLimiterHint : 1
; COMPUTE_PGM_RSRC2:SCRATCH_EN: 0
; COMPUTE_PGM_RSRC2:USER_SGPR: 2
; COMPUTE_PGM_RSRC2:TRAP_HANDLER: 0
; COMPUTE_PGM_RSRC2:TGID_X_EN: 1
; COMPUTE_PGM_RSRC2:TGID_Y_EN: 0
; COMPUTE_PGM_RSRC2:TGID_Z_EN: 0
; COMPUTE_PGM_RSRC2:TIDIG_COMP_CNT: 0
	.text
	.protected	_Z20gpu_apply_commutatoridPiS_PdS0_S0_S0_S0_S0_S0_ ; -- Begin function _Z20gpu_apply_commutatoridPiS_PdS0_S0_S0_S0_S0_S0_
	.globl	_Z20gpu_apply_commutatoridPiS_PdS0_S0_S0_S0_S0_S0_
	.p2align	8
	.type	_Z20gpu_apply_commutatoridPiS_PdS0_S0_S0_S0_S0_S0_,@function
_Z20gpu_apply_commutatoridPiS_PdS0_S0_S0_S0_S0_S0_: ; @_Z20gpu_apply_commutatoridPiS_PdS0_S0_S0_S0_S0_S0_
; %bb.0:
	s_clause 0x1
	s_load_b32 s3, s[0:1], 0x64
	s_load_b32 s2, s[0:1], 0x0
	s_bfe_u32 s4, ttmp6, 0x4000c
	s_and_b32 s5, ttmp6, 15
	s_add_co_i32 s4, s4, 1
	s_getreg_b32 s6, hwreg(HW_REG_IB_STS2, 6, 4)
	s_mul_i32 s4, ttmp9, s4
	s_delay_alu instid0(SALU_CYCLE_1) | instskip(SKIP_4) | instid1(SALU_CYCLE_1)
	s_add_co_i32 s5, s5, s4
	s_wait_kmcnt 0x0
	s_and_b32 s3, s3, 0xffff
	s_cmp_eq_u32 s6, 0
	s_cselect_b32 s4, ttmp9, s5
	v_mad_u32 v0, s4, s3, v0
	s_mov_b32 s3, exec_lo
	s_delay_alu instid0(VALU_DEP_1)
	v_cmpx_gt_i32_e64 s2, v0
	s_cbranch_execz .LBB1_6
; %bb.1:
	s_load_b512 s[4:19], s[0:1], 0x8
	v_mov_b64_e32 v[2:3], 0
	v_mov_b64_e32 v[4:5], 0
	v_ashrrev_i32_e32 v1, 31, v0
	s_mov_b32 s3, exec_lo
	s_wait_kmcnt 0x0
	global_load_b32 v6, v0, s[6:7] scale_offset
	s_wait_loadcnt 0x0
	v_cmpx_lt_i32_e32 0, v6
	s_cbranch_execz .LBB1_5
; %bb.2:
	v_mov_b64_e32 v[2:3], 0
	v_mov_b64_e32 v[4:5], 0
	v_mov_b32_e32 v7, v0
	s_mov_b32 s6, 0
.LBB1_3:                                ; =>This Inner Loop Header: Depth=1
	s_clause 0x3
	global_load_b32 v18, v7, s[8:9] scale_offset
	global_load_b64 v[8:9], v7, s[10:11] scale_offset
	global_load_b64 v[10:11], v7, s[12:13] scale_offset
	;; [unrolled: 1-line block ×3, first 2 shown]
	s_wait_loadcnt 0x3
	s_clause 0x1
	global_load_b64 v[14:15], v18, s[18:19] scale_offset
	global_load_b64 v[16:17], v18, s[16:17] scale_offset
	s_wait_xcnt 0x2
	v_dual_add_nc_u32 v6, -1, v6 :: v_dual_add_nc_u32 v7, s2, v7
	s_delay_alu instid0(VALU_DEP_1)
	v_cmp_eq_u32_e32 vcc_lo, 0, v6
	s_or_b32 s6, vcc_lo, s6
	s_wait_loadcnt 0x1
	s_wait_xcnt 0x0
	v_mul_f64_e32 v[18:19], v[10:11], v[14:15]
	v_mul_f64_e32 v[14:15], v[8:9], v[14:15]
	s_wait_loadcnt 0x0
	s_delay_alu instid0(VALU_DEP_2) | instskip(NEXT) | instid1(VALU_DEP_2)
	v_fma_f64 v[8:9], v[8:9], v[16:17], -v[18:19]
	v_fmac_f64_e32 v[14:15], v[10:11], v[16:17]
	s_delay_alu instid0(VALU_DEP_2) | instskip(NEXT) | instid1(VALU_DEP_2)
	v_fma_f64 v[2:3], -v[12:13], v[8:9], v[2:3]
	v_fma_f64 v[4:5], -v[12:13], v[14:15], v[4:5]
	s_and_not1_b32 exec_lo, exec_lo, s6
	s_cbranch_execnz .LBB1_3
; %bb.4:
	s_or_b32 exec_lo, exec_lo, s6
.LBB1_5:
	s_delay_alu instid0(SALU_CYCLE_1) | instskip(NEXT) | instid1(VALU_DEP_2)
	s_or_b32 exec_lo, exec_lo, s3
	v_div_scale_f64 v[6:7], null, s[4:5], s[4:5], v[2:3]
	s_delay_alu instid0(VALU_DEP_2) | instskip(SKIP_2) | instid1(VALU_DEP_4)
	v_div_scale_f64 v[8:9], null, s[4:5], s[4:5], v[4:5]
	v_div_scale_f64 v[18:19], vcc_lo, v[2:3], s[4:5], v[2:3]
	v_lshlrev_b64_e32 v[0:1], 3, v[0:1]
	v_rcp_f64_e32 v[10:11], v[6:7]
	s_delay_alu instid0(VALU_DEP_3) | instskip(NEXT) | instid1(TRANS32_DEP_2)
	v_rcp_f64_e32 v[12:13], v[8:9]
	v_fma_f64 v[14:15], -v[6:7], v[10:11], 1.0
	s_delay_alu instid0(TRANS32_DEP_1) | instskip(NEXT) | instid1(VALU_DEP_2)
	v_fma_f64 v[16:17], -v[8:9], v[12:13], 1.0
	v_fmac_f64_e32 v[10:11], v[10:11], v[14:15]
	s_delay_alu instid0(VALU_DEP_2) | instskip(NEXT) | instid1(VALU_DEP_2)
	v_fmac_f64_e32 v[12:13], v[12:13], v[16:17]
	v_fma_f64 v[14:15], -v[6:7], v[10:11], 1.0
	s_delay_alu instid0(VALU_DEP_2) | instskip(NEXT) | instid1(VALU_DEP_2)
	v_fma_f64 v[16:17], -v[8:9], v[12:13], 1.0
	v_fmac_f64_e32 v[10:11], v[10:11], v[14:15]
	v_div_scale_f64 v[14:15], s2, v[4:5], s[4:5], v[4:5]
	s_delay_alu instid0(VALU_DEP_3) | instskip(NEXT) | instid1(VALU_DEP_3)
	v_fmac_f64_e32 v[12:13], v[12:13], v[16:17]
	v_mul_f64_e32 v[16:17], v[18:19], v[10:11]
	s_delay_alu instid0(VALU_DEP_2) | instskip(NEXT) | instid1(VALU_DEP_2)
	v_mul_f64_e32 v[20:21], v[14:15], v[12:13]
	v_fma_f64 v[6:7], -v[6:7], v[16:17], v[18:19]
	s_delay_alu instid0(VALU_DEP_2) | instskip(NEXT) | instid1(VALU_DEP_2)
	v_fma_f64 v[8:9], -v[8:9], v[20:21], v[14:15]
	v_div_fmas_f64 v[6:7], v[6:7], v[10:11], v[16:17]
	s_mov_b32 vcc_lo, s2
	s_delay_alu instid0(VALU_DEP_2) | instskip(NEXT) | instid1(VALU_DEP_2)
	v_div_fmas_f64 v[8:9], v[8:9], v[12:13], v[20:21]
	v_div_fixup_f64 v[2:3], v[6:7], s[4:5], v[2:3]
	s_delay_alu instid0(VALU_DEP_2)
	v_div_fixup_f64 v[4:5], v[8:9], s[4:5], v[4:5]
	s_load_b128 s[4:7], s[0:1], 0x48
	s_wait_kmcnt 0x0
	v_add_nc_u64_e32 v[6:7], s[4:5], v[0:1]
	v_add_nc_u64_e32 v[0:1], s[6:7], v[0:1]
	global_store_b64 v[6:7], v[2:3], off
	global_store_b64 v[0:1], v[4:5], off
.LBB1_6:
	s_endpgm
	.section	.rodata,"a",@progbits
	.p2align	6, 0x0
	.amdhsa_kernel _Z20gpu_apply_commutatoridPiS_PdS0_S0_S0_S0_S0_S0_
		.amdhsa_group_segment_fixed_size 0
		.amdhsa_private_segment_fixed_size 0
		.amdhsa_kernarg_size 344
		.amdhsa_user_sgpr_count 2
		.amdhsa_user_sgpr_dispatch_ptr 0
		.amdhsa_user_sgpr_queue_ptr 0
		.amdhsa_user_sgpr_kernarg_segment_ptr 1
		.amdhsa_user_sgpr_dispatch_id 0
		.amdhsa_user_sgpr_kernarg_preload_length 0
		.amdhsa_user_sgpr_kernarg_preload_offset 0
		.amdhsa_user_sgpr_private_segment_size 0
		.amdhsa_wavefront_size32 1
		.amdhsa_uses_dynamic_stack 0
		.amdhsa_enable_private_segment 0
		.amdhsa_system_sgpr_workgroup_id_x 1
		.amdhsa_system_sgpr_workgroup_id_y 0
		.amdhsa_system_sgpr_workgroup_id_z 0
		.amdhsa_system_sgpr_workgroup_info 0
		.amdhsa_system_vgpr_workitem_id 0
		.amdhsa_next_free_vgpr 22
		.amdhsa_next_free_sgpr 20
		.amdhsa_named_barrier_count 0
		.amdhsa_reserve_vcc 1
		.amdhsa_float_round_mode_32 0
		.amdhsa_float_round_mode_16_64 0
		.amdhsa_float_denorm_mode_32 3
		.amdhsa_float_denorm_mode_16_64 3
		.amdhsa_fp16_overflow 0
		.amdhsa_memory_ordered 1
		.amdhsa_forward_progress 1
		.amdhsa_inst_pref_size 5
		.amdhsa_round_robin_scheduling 0
		.amdhsa_exception_fp_ieee_invalid_op 0
		.amdhsa_exception_fp_denorm_src 0
		.amdhsa_exception_fp_ieee_div_zero 0
		.amdhsa_exception_fp_ieee_overflow 0
		.amdhsa_exception_fp_ieee_underflow 0
		.amdhsa_exception_fp_ieee_inexact 0
		.amdhsa_exception_int_div_zero 0
	.end_amdhsa_kernel
	.text
.Lfunc_end1:
	.size	_Z20gpu_apply_commutatoridPiS_PdS0_S0_S0_S0_S0_S0_, .Lfunc_end1-_Z20gpu_apply_commutatoridPiS_PdS0_S0_S0_S0_S0_S0_
                                        ; -- End function
	.set _Z20gpu_apply_commutatoridPiS_PdS0_S0_S0_S0_S0_S0_.num_vgpr, 22
	.set _Z20gpu_apply_commutatoridPiS_PdS0_S0_S0_S0_S0_S0_.num_agpr, 0
	.set _Z20gpu_apply_commutatoridPiS_PdS0_S0_S0_S0_S0_S0_.numbered_sgpr, 20
	.set _Z20gpu_apply_commutatoridPiS_PdS0_S0_S0_S0_S0_S0_.num_named_barrier, 0
	.set _Z20gpu_apply_commutatoridPiS_PdS0_S0_S0_S0_S0_S0_.private_seg_size, 0
	.set _Z20gpu_apply_commutatoridPiS_PdS0_S0_S0_S0_S0_S0_.uses_vcc, 1
	.set _Z20gpu_apply_commutatoridPiS_PdS0_S0_S0_S0_S0_S0_.uses_flat_scratch, 0
	.set _Z20gpu_apply_commutatoridPiS_PdS0_S0_S0_S0_S0_S0_.has_dyn_sized_stack, 0
	.set _Z20gpu_apply_commutatoridPiS_PdS0_S0_S0_S0_S0_S0_.has_recursion, 0
	.set _Z20gpu_apply_commutatoridPiS_PdS0_S0_S0_S0_S0_S0_.has_indirect_call, 0
	.section	.AMDGPU.csdata,"",@progbits
; Kernel info:
; codeLenInByte = 596
; TotalNumSgprs: 22
; NumVgprs: 22
; ScratchSize: 0
; MemoryBound: 0
; FloatMode: 240
; IeeeMode: 1
; LDSByteSize: 0 bytes/workgroup (compile time only)
; SGPRBlocks: 0
; VGPRBlocks: 1
; NumSGPRsForWavesPerEU: 22
; NumVGPRsForWavesPerEU: 22
; NamedBarCnt: 0
; Occupancy: 16
; WaveLimiterHint : 1
; COMPUTE_PGM_RSRC2:SCRATCH_EN: 0
; COMPUTE_PGM_RSRC2:USER_SGPR: 2
; COMPUTE_PGM_RSRC2:TRAP_HANDLER: 0
; COMPUTE_PGM_RSRC2:TGID_X_EN: 1
; COMPUTE_PGM_RSRC2:TGID_Y_EN: 0
; COMPUTE_PGM_RSRC2:TGID_Z_EN: 0
; COMPUTE_PGM_RSRC2:TIDIG_COMP_CNT: 0
	.text
	.protected	_Z17gpu_apply_currentiPKiS0_PKdS2_S2_S2_S2_PdS3_ ; -- Begin function _Z17gpu_apply_currentiPKiS0_PKdS2_S2_S2_S2_PdS3_
	.globl	_Z17gpu_apply_currentiPKiS0_PKdS2_S2_S2_S2_PdS3_
	.p2align	8
	.type	_Z17gpu_apply_currentiPKiS0_PKdS2_S2_S2_S2_PdS3_,@function
_Z17gpu_apply_currentiPKiS0_PKdS2_S2_S2_S2_PdS3_: ; @_Z17gpu_apply_currentiPKiS0_PKdS2_S2_S2_S2_PdS3_
; %bb.0:
	s_clause 0x1
	s_load_b32 s3, s[0:1], 0x5c
	s_load_b32 s2, s[0:1], 0x0
	s_bfe_u32 s4, ttmp6, 0x4000c
	s_and_b32 s5, ttmp6, 15
	s_add_co_i32 s4, s4, 1
	s_getreg_b32 s6, hwreg(HW_REG_IB_STS2, 6, 4)
	s_mul_i32 s4, ttmp9, s4
	s_delay_alu instid0(SALU_CYCLE_1) | instskip(SKIP_4) | instid1(SALU_CYCLE_1)
	s_add_co_i32 s5, s5, s4
	s_wait_kmcnt 0x0
	s_and_b32 s3, s3, 0xffff
	s_cmp_eq_u32 s6, 0
	s_cselect_b32 s4, ttmp9, s5
	v_mad_u32 v0, s4, s3, v0
	s_mov_b32 s3, exec_lo
	s_delay_alu instid0(VALU_DEP_1)
	v_cmpx_gt_i32_e64 s2, v0
	s_cbranch_execz .LBB2_6
; %bb.1:
	s_load_b64 s[4:5], s[0:1], 0x8
	v_mov_b64_e32 v[2:3], 0
	v_mov_b64_e32 v[4:5], 0
	v_ashrrev_i32_e32 v1, 31, v0
	s_mov_b32 s3, exec_lo
	s_wait_kmcnt 0x0
	global_load_b32 v6, v0, s[4:5] scale_offset
	s_wait_loadcnt 0x0
	v_cmpx_lt_i32_e32 0, v6
	s_cbranch_execz .LBB2_5
; %bb.2:
	s_clause 0x1
	s_load_b256 s[4:11], s[0:1], 0x10
	s_load_b128 s[12:15], s[0:1], 0x30
	v_mov_b64_e32 v[2:3], 0
	v_mov_b64_e32 v[4:5], 0
	v_mov_b32_e32 v7, v0
	s_mov_b32 s16, 0
.LBB2_3:                                ; =>This Inner Loop Header: Depth=1
	s_wait_kmcnt 0x0
	s_clause 0x3
	global_load_b32 v18, v7, s[4:5] scale_offset
	global_load_b64 v[8:9], v7, s[6:7] scale_offset
	global_load_b64 v[10:11], v7, s[8:9] scale_offset
	;; [unrolled: 1-line block ×3, first 2 shown]
	s_wait_xcnt 0x0
	v_add_nc_u32_e32 v7, s2, v7
	s_wait_loadcnt 0x3
	s_clause 0x1
	global_load_b64 v[14:15], v18, s[14:15] scale_offset
	global_load_b64 v[16:17], v18, s[12:13] scale_offset
	v_add_nc_u32_e32 v6, -1, v6
	s_delay_alu instid0(VALU_DEP_1)
	v_cmp_eq_u32_e32 vcc_lo, 0, v6
	s_or_b32 s16, vcc_lo, s16
	s_wait_loadcnt 0x1
	s_wait_xcnt 0x0
	v_mul_f64_e32 v[18:19], v[10:11], v[14:15]
	v_mul_f64_e32 v[14:15], v[8:9], v[14:15]
	s_wait_loadcnt 0x0
	s_delay_alu instid0(VALU_DEP_2) | instskip(NEXT) | instid1(VALU_DEP_2)
	v_fma_f64 v[8:9], v[8:9], v[16:17], -v[18:19]
	v_fmac_f64_e32 v[14:15], v[10:11], v[16:17]
	s_delay_alu instid0(VALU_DEP_2) | instskip(NEXT) | instid1(VALU_DEP_2)
	v_fmac_f64_e32 v[2:3], v[12:13], v[8:9]
	v_fmac_f64_e32 v[4:5], v[12:13], v[14:15]
	s_and_not1_b32 exec_lo, exec_lo, s16
	s_cbranch_execnz .LBB2_3
; %bb.4:
	s_or_b32 exec_lo, exec_lo, s16
.LBB2_5:
	s_delay_alu instid0(SALU_CYCLE_1) | instskip(SKIP_2) | instid1(VALU_DEP_3)
	s_or_b32 exec_lo, exec_lo, s3
	s_load_b128 s[4:7], s[0:1], 0x40
	v_lshlrev_b64_e32 v[0:1], 3, v[0:1]
	v_xor_b32_e32 v3, 0x80000000, v3
	s_wait_kmcnt 0x0
	s_delay_alu instid0(VALU_DEP_2)
	v_add_nc_u64_e32 v[6:7], s[4:5], v[0:1]
	v_add_nc_u64_e32 v[0:1], s[6:7], v[0:1]
	global_store_b64 v[6:7], v[4:5], off
	global_store_b64 v[0:1], v[2:3], off
.LBB2_6:
	s_endpgm
	.section	.rodata,"a",@progbits
	.p2align	6, 0x0
	.amdhsa_kernel _Z17gpu_apply_currentiPKiS0_PKdS2_S2_S2_S2_PdS3_
		.amdhsa_group_segment_fixed_size 0
		.amdhsa_private_segment_fixed_size 0
		.amdhsa_kernarg_size 336
		.amdhsa_user_sgpr_count 2
		.amdhsa_user_sgpr_dispatch_ptr 0
		.amdhsa_user_sgpr_queue_ptr 0
		.amdhsa_user_sgpr_kernarg_segment_ptr 1
		.amdhsa_user_sgpr_dispatch_id 0
		.amdhsa_user_sgpr_kernarg_preload_length 0
		.amdhsa_user_sgpr_kernarg_preload_offset 0
		.amdhsa_user_sgpr_private_segment_size 0
		.amdhsa_wavefront_size32 1
		.amdhsa_uses_dynamic_stack 0
		.amdhsa_enable_private_segment 0
		.amdhsa_system_sgpr_workgroup_id_x 1
		.amdhsa_system_sgpr_workgroup_id_y 0
		.amdhsa_system_sgpr_workgroup_id_z 0
		.amdhsa_system_sgpr_workgroup_info 0
		.amdhsa_system_vgpr_workitem_id 0
		.amdhsa_next_free_vgpr 20
		.amdhsa_next_free_sgpr 17
		.amdhsa_named_barrier_count 0
		.amdhsa_reserve_vcc 1
		.amdhsa_float_round_mode_32 0
		.amdhsa_float_round_mode_16_64 0
		.amdhsa_float_denorm_mode_32 3
		.amdhsa_float_denorm_mode_16_64 3
		.amdhsa_fp16_overflow 0
		.amdhsa_memory_ordered 1
		.amdhsa_forward_progress 1
		.amdhsa_inst_pref_size 4
		.amdhsa_round_robin_scheduling 0
		.amdhsa_exception_fp_ieee_invalid_op 0
		.amdhsa_exception_fp_denorm_src 0
		.amdhsa_exception_fp_ieee_div_zero 0
		.amdhsa_exception_fp_ieee_overflow 0
		.amdhsa_exception_fp_ieee_underflow 0
		.amdhsa_exception_fp_ieee_inexact 0
		.amdhsa_exception_int_div_zero 0
	.end_amdhsa_kernel
	.text
.Lfunc_end2:
	.size	_Z17gpu_apply_currentiPKiS0_PKdS2_S2_S2_S2_PdS3_, .Lfunc_end2-_Z17gpu_apply_currentiPKiS0_PKdS2_S2_S2_S2_PdS3_
                                        ; -- End function
	.set _Z17gpu_apply_currentiPKiS0_PKdS2_S2_S2_S2_PdS3_.num_vgpr, 20
	.set _Z17gpu_apply_currentiPKiS0_PKdS2_S2_S2_S2_PdS3_.num_agpr, 0
	.set _Z17gpu_apply_currentiPKiS0_PKdS2_S2_S2_S2_PdS3_.numbered_sgpr, 17
	.set _Z17gpu_apply_currentiPKiS0_PKdS2_S2_S2_S2_PdS3_.num_named_barrier, 0
	.set _Z17gpu_apply_currentiPKiS0_PKdS2_S2_S2_S2_PdS3_.private_seg_size, 0
	.set _Z17gpu_apply_currentiPKiS0_PKdS2_S2_S2_S2_PdS3_.uses_vcc, 1
	.set _Z17gpu_apply_currentiPKiS0_PKdS2_S2_S2_S2_PdS3_.uses_flat_scratch, 0
	.set _Z17gpu_apply_currentiPKiS0_PKdS2_S2_S2_S2_PdS3_.has_dyn_sized_stack, 0
	.set _Z17gpu_apply_currentiPKiS0_PKdS2_S2_S2_S2_PdS3_.has_recursion, 0
	.set _Z17gpu_apply_currentiPKiS0_PKdS2_S2_S2_S2_PdS3_.has_indirect_call, 0
	.section	.AMDGPU.csdata,"",@progbits
; Kernel info:
; codeLenInByte = 432
; TotalNumSgprs: 19
; NumVgprs: 20
; ScratchSize: 0
; MemoryBound: 0
; FloatMode: 240
; IeeeMode: 1
; LDSByteSize: 0 bytes/workgroup (compile time only)
; SGPRBlocks: 0
; VGPRBlocks: 1
; NumSGPRsForWavesPerEU: 19
; NumVGPRsForWavesPerEU: 20
; NamedBarCnt: 0
; Occupancy: 16
; WaveLimiterHint : 1
; COMPUTE_PGM_RSRC2:SCRATCH_EN: 0
; COMPUTE_PGM_RSRC2:USER_SGPR: 2
; COMPUTE_PGM_RSRC2:TRAP_HANDLER: 0
; COMPUTE_PGM_RSRC2:TGID_X_EN: 1
; COMPUTE_PGM_RSRC2:TGID_Y_EN: 0
; COMPUTE_PGM_RSRC2:TGID_Z_EN: 0
; COMPUTE_PGM_RSRC2:TIDIG_COMP_CNT: 0
	.text
	.protected	_Z16gpu_chebyshev_01iPKdS0_S0_S0_PdS1_ddi ; -- Begin function _Z16gpu_chebyshev_01iPKdS0_S0_S0_PdS1_ddi
	.globl	_Z16gpu_chebyshev_01iPKdS0_S0_S0_PdS1_ddi
	.p2align	8
	.type	_Z16gpu_chebyshev_01iPKdS0_S0_S0_PdS1_ddi,@function
_Z16gpu_chebyshev_01iPKdS0_S0_S0_PdS1_ddi: ; @_Z16gpu_chebyshev_01iPKdS0_S0_S0_PdS1_ddi
; %bb.0:
	s_clause 0x1
	s_load_b32 s2, s[0:1], 0x5c
	s_load_b32 s3, s[0:1], 0x0
	s_bfe_u32 s4, ttmp6, 0x4000c
	s_and_b32 s5, ttmp6, 15
	s_add_co_i32 s4, s4, 1
	s_getreg_b32 s6, hwreg(HW_REG_IB_STS2, 6, 4)
	s_mul_i32 s4, ttmp9, s4
	s_delay_alu instid0(SALU_CYCLE_1) | instskip(SKIP_4) | instid1(SALU_CYCLE_1)
	s_add_co_i32 s5, s5, s4
	s_wait_kmcnt 0x0
	s_and_b32 s2, s2, 0xffff
	s_cmp_eq_u32 s6, 0
	s_cselect_b32 s4, ttmp9, s5
	v_mad_u32 v0, s4, s2, v0
	s_mov_b32 s2, exec_lo
	s_delay_alu instid0(VALU_DEP_1)
	v_cmpx_gt_i32_e64 s3, v0
	s_cbranch_execz .LBB3_2
; %bb.1:
	s_clause 0x1
	s_load_b256 s[4:11], s[0:1], 0x8
	s_load_b32 s2, s[0:1], 0x48
	s_wait_kmcnt 0x0
	s_clause 0x3
	global_load_b64 v[2:3], v0, s[10:11] scale_offset
	global_load_b64 v[4:5], v0, s[8:9] scale_offset
	;; [unrolled: 1-line block ×4, first 2 shown]
	v_cvt_f64_i32_e32 v[10:11], s2
	s_wait_xcnt 0x0
	s_load_b256 s[4:11], s[0:1], 0x28
	s_wait_kmcnt 0x0
	s_delay_alu instid0(VALU_DEP_1) | instskip(SKIP_1) | instid1(VALU_DEP_1)
	v_mul_f64_e32 v[10:11], s[10:11], v[10:11]
	s_wait_loadcnt 0x3
	v_mul_f64_e32 v[2:3], v[10:11], v[2:3]
	s_wait_loadcnt 0x2
	;; [unrolled: 2-line block ×3, first 2 shown]
	s_delay_alu instid0(VALU_DEP_2) | instskip(SKIP_1) | instid1(VALU_DEP_2)
	v_fmac_f64_e32 v[2:3], s[8:9], v[6:7]
	s_wait_loadcnt 0x0
	v_fma_f64 v[4:5], s[8:9], v[8:9], -v[4:5]
	s_clause 0x1
	global_store_b64 v0, v[2:3], s[4:5] scale_offset
	global_store_b64 v0, v[4:5], s[6:7] scale_offset
.LBB3_2:
	s_endpgm
	.section	.rodata,"a",@progbits
	.p2align	6, 0x0
	.amdhsa_kernel _Z16gpu_chebyshev_01iPKdS0_S0_S0_PdS1_ddi
		.amdhsa_group_segment_fixed_size 0
		.amdhsa_private_segment_fixed_size 0
		.amdhsa_kernarg_size 336
		.amdhsa_user_sgpr_count 2
		.amdhsa_user_sgpr_dispatch_ptr 0
		.amdhsa_user_sgpr_queue_ptr 0
		.amdhsa_user_sgpr_kernarg_segment_ptr 1
		.amdhsa_user_sgpr_dispatch_id 0
		.amdhsa_user_sgpr_kernarg_preload_length 0
		.amdhsa_user_sgpr_kernarg_preload_offset 0
		.amdhsa_user_sgpr_private_segment_size 0
		.amdhsa_wavefront_size32 1
		.amdhsa_uses_dynamic_stack 0
		.amdhsa_enable_private_segment 0
		.amdhsa_system_sgpr_workgroup_id_x 1
		.amdhsa_system_sgpr_workgroup_id_y 0
		.amdhsa_system_sgpr_workgroup_id_z 0
		.amdhsa_system_sgpr_workgroup_info 0
		.amdhsa_system_vgpr_workitem_id 0
		.amdhsa_next_free_vgpr 12
		.amdhsa_next_free_sgpr 12
		.amdhsa_named_barrier_count 0
		.amdhsa_reserve_vcc 0
		.amdhsa_float_round_mode_32 0
		.amdhsa_float_round_mode_16_64 0
		.amdhsa_float_denorm_mode_32 3
		.amdhsa_float_denorm_mode_16_64 3
		.amdhsa_fp16_overflow 0
		.amdhsa_memory_ordered 1
		.amdhsa_forward_progress 1
		.amdhsa_inst_pref_size 3
		.amdhsa_round_robin_scheduling 0
		.amdhsa_exception_fp_ieee_invalid_op 0
		.amdhsa_exception_fp_denorm_src 0
		.amdhsa_exception_fp_ieee_div_zero 0
		.amdhsa_exception_fp_ieee_overflow 0
		.amdhsa_exception_fp_ieee_underflow 0
		.amdhsa_exception_fp_ieee_inexact 0
		.amdhsa_exception_int_div_zero 0
	.end_amdhsa_kernel
	.text
.Lfunc_end3:
	.size	_Z16gpu_chebyshev_01iPKdS0_S0_S0_PdS1_ddi, .Lfunc_end3-_Z16gpu_chebyshev_01iPKdS0_S0_S0_PdS1_ddi
                                        ; -- End function
	.set _Z16gpu_chebyshev_01iPKdS0_S0_S0_PdS1_ddi.num_vgpr, 12
	.set _Z16gpu_chebyshev_01iPKdS0_S0_S0_PdS1_ddi.num_agpr, 0
	.set _Z16gpu_chebyshev_01iPKdS0_S0_S0_PdS1_ddi.numbered_sgpr, 12
	.set _Z16gpu_chebyshev_01iPKdS0_S0_S0_PdS1_ddi.num_named_barrier, 0
	.set _Z16gpu_chebyshev_01iPKdS0_S0_S0_PdS1_ddi.private_seg_size, 0
	.set _Z16gpu_chebyshev_01iPKdS0_S0_S0_PdS1_ddi.uses_vcc, 0
	.set _Z16gpu_chebyshev_01iPKdS0_S0_S0_PdS1_ddi.uses_flat_scratch, 0
	.set _Z16gpu_chebyshev_01iPKdS0_S0_S0_PdS1_ddi.has_dyn_sized_stack, 0
	.set _Z16gpu_chebyshev_01iPKdS0_S0_S0_PdS1_ddi.has_recursion, 0
	.set _Z16gpu_chebyshev_01iPKdS0_S0_S0_PdS1_ddi.has_indirect_call, 0
	.section	.AMDGPU.csdata,"",@progbits
; Kernel info:
; codeLenInByte = 276
; TotalNumSgprs: 12
; NumVgprs: 12
; ScratchSize: 0
; MemoryBound: 0
; FloatMode: 240
; IeeeMode: 1
; LDSByteSize: 0 bytes/workgroup (compile time only)
; SGPRBlocks: 0
; VGPRBlocks: 0
; NumSGPRsForWavesPerEU: 12
; NumVGPRsForWavesPerEU: 12
; NamedBarCnt: 0
; Occupancy: 16
; WaveLimiterHint : 0
; COMPUTE_PGM_RSRC2:SCRATCH_EN: 0
; COMPUTE_PGM_RSRC2:USER_SGPR: 2
; COMPUTE_PGM_RSRC2:TRAP_HANDLER: 0
; COMPUTE_PGM_RSRC2:TGID_X_EN: 1
; COMPUTE_PGM_RSRC2:TGID_Y_EN: 0
; COMPUTE_PGM_RSRC2:TGID_Z_EN: 0
; COMPUTE_PGM_RSRC2:TIDIG_COMP_CNT: 0
	.text
	.protected	_Z15gpu_chebyshev_2idPKiS0_PKdS2_S2_S2_S2_S2_S2_PdS3_S3_S3_di ; -- Begin function _Z15gpu_chebyshev_2idPKiS0_PKdS2_S2_S2_S2_S2_S2_PdS3_S3_S3_di
	.globl	_Z15gpu_chebyshev_2idPKiS0_PKdS2_S2_S2_S2_S2_S2_PdS3_S3_S3_di
	.p2align	8
	.type	_Z15gpu_chebyshev_2idPKiS0_PKdS2_S2_S2_S2_S2_S2_PdS3_S3_S3_di,@function
_Z15gpu_chebyshev_2idPKiS0_PKdS2_S2_S2_S2_S2_S2_PdS3_S3_S3_di: ; @_Z15gpu_chebyshev_2idPKiS0_PKdS2_S2_S2_S2_S2_S2_PdS3_S3_S3_di
; %bb.0:
	s_clause 0x1
	s_load_b32 s2, s[0:1], 0x94
	s_load_b32 s12, s[0:1], 0x0
	s_bfe_u32 s3, ttmp6, 0x4000c
	s_and_b32 s4, ttmp6, 15
	s_add_co_i32 s3, s3, 1
	s_getreg_b32 s5, hwreg(HW_REG_IB_STS2, 6, 4)
	s_mul_i32 s3, ttmp9, s3
	s_delay_alu instid0(SALU_CYCLE_1) | instskip(SKIP_4) | instid1(SALU_CYCLE_1)
	s_add_co_i32 s4, s4, s3
	s_wait_kmcnt 0x0
	s_and_b32 s2, s2, 0xffff
	s_cmp_eq_u32 s5, 0
	s_cselect_b32 s3, ttmp9, s4
	v_mad_u32 v0, s3, s2, v0
	s_mov_b32 s2, exec_lo
	s_delay_alu instid0(VALU_DEP_1)
	v_cmpx_gt_i32_e64 s12, v0
	s_cbranch_execz .LBB4_20
; %bb.1:
	s_clause 0x1
	s_load_b64 s[2:3], s[0:1], 0x20
	s_load_b128 s[4:7], s[0:1], 0x48
	s_mov_b32 s13, exec_lo
	s_wait_kmcnt 0x0
	s_clause 0x2
	global_load_b64 v[4:5], v0, s[2:3] scale_offset
	global_load_b64 v[2:3], v0, s[4:5] scale_offset
	;; [unrolled: 1-line block ×3, first 2 shown]
	s_wait_xcnt 0x2
	s_load_b64 s[2:3], s[0:1], 0x10
	v_ashrrev_i32_e32 v1, 31, v0
	s_wait_kmcnt 0x0
	global_load_b32 v6, v0, s[2:3] scale_offset
	s_wait_loadcnt 0x2
	v_mul_f64_e32 v[2:3], v[4:5], v[2:3]
	s_wait_loadcnt 0x1
	v_mul_f64_e32 v[4:5], v[4:5], v[8:9]
	s_wait_loadcnt 0x0
	v_cmpx_lt_i32_e32 0, v6
	s_cbranch_execz .LBB4_5
; %bb.2:
	s_clause 0x1
	s_load_b64 s[2:3], s[0:1], 0x18
	s_load_b128 s[8:11], s[0:1], 0x28
	v_mov_b32_e32 v7, v0
	s_mov_b32 s14, 0
.LBB4_3:                                ; =>This Inner Loop Header: Depth=1
	s_wait_kmcnt 0x0
	s_clause 0x2
	global_load_b32 v16, v7, s[2:3] scale_offset
	global_load_b64 v[8:9], v7, s[8:9] scale_offset
	global_load_b64 v[10:11], v7, s[10:11] scale_offset
	s_wait_loadcnt 0x2
	s_clause 0x1
	global_load_b64 v[12:13], v16, s[6:7] scale_offset
	global_load_b64 v[14:15], v16, s[4:5] scale_offset
	s_wait_xcnt 0x2
	v_dual_add_nc_u32 v6, -1, v6 :: v_dual_add_nc_u32 v7, s12, v7
	s_delay_alu instid0(VALU_DEP_1)
	v_cmp_eq_u32_e32 vcc_lo, 0, v6
	s_or_b32 s14, vcc_lo, s14
	s_wait_loadcnt 0x1
	s_wait_xcnt 0x0
	v_mul_f64_e32 v[16:17], v[10:11], v[12:13]
	v_mul_f64_e32 v[12:13], v[8:9], v[12:13]
	s_wait_loadcnt 0x0
	s_delay_alu instid0(VALU_DEP_2) | instskip(NEXT) | instid1(VALU_DEP_2)
	v_fma_f64 v[8:9], v[8:9], v[14:15], -v[16:17]
	v_fmac_f64_e32 v[12:13], v[10:11], v[14:15]
	s_delay_alu instid0(VALU_DEP_2) | instskip(NEXT) | instid1(VALU_DEP_2)
	v_add_f64_e32 v[2:3], v[2:3], v[8:9]
	v_add_f64_e32 v[4:5], v[4:5], v[12:13]
	s_and_not1_b32 exec_lo, exec_lo, s14
	s_cbranch_execnz .LBB4_3
; %bb.4:
	s_or_b32 exec_lo, exec_lo, s14
.LBB4_5:
	s_delay_alu instid0(SALU_CYCLE_1)
	s_or_b32 exec_lo, exec_lo, s13
	s_clause 0x2
	s_load_b256 s[4:11], s[0:1], 0x58
	s_load_b128 s[12:15], s[0:1], 0x38
	s_load_b64 s[2:3], s[0:1], 0x8
	v_lshlrev_b64_e32 v[0:1], 3, v[0:1]
	s_load_b96 s[16:18], s[0:1], 0x78
	s_wait_kmcnt 0x0
	s_delay_alu instid0(VALU_DEP_1) | instskip(NEXT) | instid1(VALU_DEP_4)
	v_add_nc_u64_e32 v[6:7], s[12:13], v[0:1]
	v_div_scale_f64 v[8:9], null, s[2:3], s[2:3], v[2:3]
	v_add_nc_u64_e32 v[10:11], s[14:15], v[0:1]
	v_div_scale_f64 v[12:13], null, s[2:3], s[2:3], v[4:5]
	v_div_scale_f64 v[22:23], vcc_lo, v[2:3], s[2:3], v[2:3]
	global_load_b64 v[14:15], v[6:7], off
	global_load_b64 v[16:17], v[10:11], off
	s_cmp_lt_i32 s18, 3
	s_wait_xcnt 0x1
	v_rcp_f64_e32 v[6:7], v[8:9]
	s_wait_xcnt 0x0
	v_rcp_f64_e32 v[10:11], v[12:13]
	s_delay_alu instid0(TRANS32_DEP_2) | instskip(NEXT) | instid1(TRANS32_DEP_1)
	v_fma_f64 v[18:19], -v[8:9], v[6:7], 1.0
	v_fma_f64 v[20:21], -v[12:13], v[10:11], 1.0
	s_delay_alu instid0(VALU_DEP_2) | instskip(NEXT) | instid1(VALU_DEP_2)
	v_fmac_f64_e32 v[6:7], v[6:7], v[18:19]
	v_fmac_f64_e32 v[10:11], v[10:11], v[20:21]
	s_delay_alu instid0(VALU_DEP_2) | instskip(NEXT) | instid1(VALU_DEP_2)
	v_fma_f64 v[18:19], -v[8:9], v[6:7], 1.0
	v_fma_f64 v[20:21], -v[12:13], v[10:11], 1.0
	s_delay_alu instid0(VALU_DEP_2) | instskip(SKIP_1) | instid1(VALU_DEP_3)
	v_fmac_f64_e32 v[6:7], v[6:7], v[18:19]
	v_div_scale_f64 v[18:19], s0, v[4:5], s[2:3], v[4:5]
	v_fmac_f64_e32 v[10:11], v[10:11], v[20:21]
	s_delay_alu instid0(VALU_DEP_3) | instskip(NEXT) | instid1(VALU_DEP_2)
	v_mul_f64_e32 v[20:21], v[22:23], v[6:7]
	v_mul_f64_e32 v[24:25], v[18:19], v[10:11]
	s_delay_alu instid0(VALU_DEP_2) | instskip(NEXT) | instid1(VALU_DEP_2)
	v_fma_f64 v[8:9], -v[8:9], v[20:21], v[22:23]
	v_fma_f64 v[12:13], -v[12:13], v[24:25], v[18:19]
	s_delay_alu instid0(VALU_DEP_2) | instskip(SKIP_2) | instid1(VALU_DEP_2)
	v_div_fmas_f64 v[6:7], v[8:9], v[6:7], v[20:21]
	s_mov_b32 vcc_lo, s0
	s_mov_b32 s0, -1
	v_div_fmas_f64 v[8:9], v[12:13], v[10:11], v[24:25]
	s_delay_alu instid0(VALU_DEP_2) | instskip(NEXT) | instid1(VALU_DEP_2)
	v_div_fixup_f64 v[2:3], v[6:7], s[2:3], v[2:3]
	v_div_fixup_f64 v[4:5], v[8:9], s[2:3], v[4:5]
	s_wait_loadcnt 0x1
	s_delay_alu instid0(VALU_DEP_2) | instskip(SKIP_1) | instid1(VALU_DEP_2)
	v_fma_f64 v[2:3], v[2:3], 2.0, -v[14:15]
	s_wait_loadcnt 0x0
	v_fma_f64 v[4:5], v[4:5], 2.0, -v[16:17]
	s_cbranch_scc1 .LBB4_13
; %bb.6:
	s_cmp_lt_i32 s18, 4
	s_cbranch_scc1 .LBB4_10
; %bb.7:
	s_cmp_eq_u32 s18, 4
	s_cbranch_scc0 .LBB4_9
; %bb.8:
	v_add_nc_u64_e32 v[6:7], s[8:9], v[0:1]
	v_add_nc_u64_e32 v[8:9], s[10:11], v[0:1]
	global_load_b64 v[10:11], v[6:7], off
	global_load_b64 v[12:13], v[8:9], off
	s_wait_loadcnt 0x1
	v_fma_f64 v[10:11], -s[16:17], v[4:5], v[10:11]
	s_wait_loadcnt 0x0
	v_fmac_f64_e32 v[12:13], s[16:17], v[2:3]
	global_store_b64 v[6:7], v[10:11], off
	global_store_b64 v[8:9], v[12:13], off
.LBB4_9:
	s_mov_b32 s0, 0
.LBB4_10:
	s_delay_alu instid0(SALU_CYCLE_1)
	s_and_not1_b32 vcc_lo, exec_lo, s0
	s_cbranch_vccnz .LBB4_12
; %bb.11:
	s_wait_xcnt 0x1
	v_add_nc_u64_e32 v[6:7], s[8:9], v[0:1]
	s_wait_xcnt 0x0
	v_add_nc_u64_e32 v[8:9], s[10:11], v[0:1]
	global_load_b64 v[10:11], v[6:7], off
	global_load_b64 v[12:13], v[8:9], off
	s_wait_loadcnt 0x1
	v_fmac_f64_e32 v[10:11], s[16:17], v[4:5]
	s_wait_loadcnt 0x0
	v_fma_f64 v[12:13], -s[16:17], v[2:3], v[12:13]
	global_store_b64 v[6:7], v[10:11], off
	global_store_b64 v[8:9], v[12:13], off
.LBB4_12:
	s_mov_b32 s0, 0
.LBB4_13:
	s_delay_alu instid0(SALU_CYCLE_1)
	s_and_not1_b32 vcc_lo, exec_lo, s0
	s_cbranch_vccnz .LBB4_19
; %bb.14:
	s_cmp_gt_i32 s18, 1
	s_mov_b32 s0, -1
	s_cbranch_scc0 .LBB4_16
; %bb.15:
	s_wait_xcnt 0x1
	v_add_nc_u64_e32 v[6:7], s[8:9], v[0:1]
	s_wait_xcnt 0x0
	v_add_nc_u64_e32 v[8:9], s[10:11], v[0:1]
	s_mov_b32 s0, 0
	global_load_b64 v[10:11], v[6:7], off
	global_load_b64 v[12:13], v[8:9], off
	s_wait_loadcnt 0x1
	v_fma_f64 v[10:11], -s[16:17], v[2:3], v[10:11]
	s_wait_loadcnt 0x0
	v_fma_f64 v[12:13], -s[16:17], v[4:5], v[12:13]
	global_store_b64 v[6:7], v[10:11], off
	global_store_b64 v[8:9], v[12:13], off
.LBB4_16:
	s_and_not1_b32 vcc_lo, exec_lo, s0
	s_cbranch_vccnz .LBB4_19
; %bb.17:
	s_cmp_eq_u32 s18, 1
	s_cbranch_scc0 .LBB4_19
; %bb.18:
	s_wait_xcnt 0x1
	v_add_nc_u64_e32 v[6:7], s[8:9], v[0:1]
	s_wait_xcnt 0x0
	v_add_nc_u64_e32 v[8:9], s[10:11], v[0:1]
	global_load_b64 v[10:11], v[6:7], off
	global_load_b64 v[12:13], v[8:9], off
	s_wait_loadcnt 0x1
	v_fmac_f64_e32 v[10:11], s[16:17], v[2:3]
	s_wait_loadcnt 0x0
	v_fmac_f64_e32 v[12:13], s[16:17], v[4:5]
	global_store_b64 v[6:7], v[10:11], off
	global_store_b64 v[8:9], v[12:13], off
.LBB4_19:
	s_wait_xcnt 0x1
	v_add_nc_u64_e32 v[6:7], s[4:5], v[0:1]
	v_add_nc_u64_e32 v[0:1], s[6:7], v[0:1]
	global_store_b64 v[6:7], v[2:3], off
	global_store_b64 v[0:1], v[4:5], off
.LBB4_20:
	s_endpgm
	.section	.rodata,"a",@progbits
	.p2align	6, 0x0
	.amdhsa_kernel _Z15gpu_chebyshev_2idPKiS0_PKdS2_S2_S2_S2_S2_S2_PdS3_S3_S3_di
		.amdhsa_group_segment_fixed_size 0
		.amdhsa_private_segment_fixed_size 0
		.amdhsa_kernarg_size 392
		.amdhsa_user_sgpr_count 2
		.amdhsa_user_sgpr_dispatch_ptr 0
		.amdhsa_user_sgpr_queue_ptr 0
		.amdhsa_user_sgpr_kernarg_segment_ptr 1
		.amdhsa_user_sgpr_dispatch_id 0
		.amdhsa_user_sgpr_kernarg_preload_length 0
		.amdhsa_user_sgpr_kernarg_preload_offset 0
		.amdhsa_user_sgpr_private_segment_size 0
		.amdhsa_wavefront_size32 1
		.amdhsa_uses_dynamic_stack 0
		.amdhsa_enable_private_segment 0
		.amdhsa_system_sgpr_workgroup_id_x 1
		.amdhsa_system_sgpr_workgroup_id_y 0
		.amdhsa_system_sgpr_workgroup_id_z 0
		.amdhsa_system_sgpr_workgroup_info 0
		.amdhsa_system_vgpr_workitem_id 0
		.amdhsa_next_free_vgpr 26
		.amdhsa_next_free_sgpr 19
		.amdhsa_named_barrier_count 0
		.amdhsa_reserve_vcc 1
		.amdhsa_float_round_mode_32 0
		.amdhsa_float_round_mode_16_64 0
		.amdhsa_float_denorm_mode_32 3
		.amdhsa_float_denorm_mode_16_64 3
		.amdhsa_fp16_overflow 0
		.amdhsa_memory_ordered 1
		.amdhsa_forward_progress 1
		.amdhsa_inst_pref_size 10
		.amdhsa_round_robin_scheduling 0
		.amdhsa_exception_fp_ieee_invalid_op 0
		.amdhsa_exception_fp_denorm_src 0
		.amdhsa_exception_fp_ieee_div_zero 0
		.amdhsa_exception_fp_ieee_overflow 0
		.amdhsa_exception_fp_ieee_underflow 0
		.amdhsa_exception_fp_ieee_inexact 0
		.amdhsa_exception_int_div_zero 0
	.end_amdhsa_kernel
	.text
.Lfunc_end4:
	.size	_Z15gpu_chebyshev_2idPKiS0_PKdS2_S2_S2_S2_S2_S2_PdS3_S3_S3_di, .Lfunc_end4-_Z15gpu_chebyshev_2idPKiS0_PKdS2_S2_S2_S2_S2_S2_PdS3_S3_S3_di
                                        ; -- End function
	.set _Z15gpu_chebyshev_2idPKiS0_PKdS2_S2_S2_S2_S2_S2_PdS3_S3_S3_di.num_vgpr, 26
	.set _Z15gpu_chebyshev_2idPKiS0_PKdS2_S2_S2_S2_S2_S2_PdS3_S3_S3_di.num_agpr, 0
	.set _Z15gpu_chebyshev_2idPKiS0_PKdS2_S2_S2_S2_S2_S2_PdS3_S3_S3_di.numbered_sgpr, 19
	.set _Z15gpu_chebyshev_2idPKiS0_PKdS2_S2_S2_S2_S2_S2_PdS3_S3_S3_di.num_named_barrier, 0
	.set _Z15gpu_chebyshev_2idPKiS0_PKdS2_S2_S2_S2_S2_S2_PdS3_S3_S3_di.private_seg_size, 0
	.set _Z15gpu_chebyshev_2idPKiS0_PKdS2_S2_S2_S2_S2_S2_PdS3_S3_S3_di.uses_vcc, 1
	.set _Z15gpu_chebyshev_2idPKiS0_PKdS2_S2_S2_S2_S2_S2_PdS3_S3_S3_di.uses_flat_scratch, 0
	.set _Z15gpu_chebyshev_2idPKiS0_PKdS2_S2_S2_S2_S2_S2_PdS3_S3_S3_di.has_dyn_sized_stack, 0
	.set _Z15gpu_chebyshev_2idPKiS0_PKdS2_S2_S2_S2_S2_S2_PdS3_S3_S3_di.has_recursion, 0
	.set _Z15gpu_chebyshev_2idPKiS0_PKdS2_S2_S2_S2_S2_S2_PdS3_S3_S3_di.has_indirect_call, 0
	.section	.AMDGPU.csdata,"",@progbits
; Kernel info:
; codeLenInByte = 1184
; TotalNumSgprs: 21
; NumVgprs: 26
; ScratchSize: 0
; MemoryBound: 0
; FloatMode: 240
; IeeeMode: 1
; LDSByteSize: 0 bytes/workgroup (compile time only)
; SGPRBlocks: 0
; VGPRBlocks: 1
; NumSGPRsForWavesPerEU: 21
; NumVGPRsForWavesPerEU: 26
; NamedBarCnt: 0
; Occupancy: 16
; WaveLimiterHint : 1
; COMPUTE_PGM_RSRC2:SCRATCH_EN: 0
; COMPUTE_PGM_RSRC2:USER_SGPR: 2
; COMPUTE_PGM_RSRC2:TRAP_HANDLER: 0
; COMPUTE_PGM_RSRC2:TGID_X_EN: 1
; COMPUTE_PGM_RSRC2:TGID_Y_EN: 0
; COMPUTE_PGM_RSRC2:TGID_Z_EN: 0
; COMPUTE_PGM_RSRC2:TIDIG_COMP_CNT: 0
	.text
	.protected	_Z16gpu_chebyshev_1xiPKdS0_PdS1_d ; -- Begin function _Z16gpu_chebyshev_1xiPKdS0_PdS1_d
	.globl	_Z16gpu_chebyshev_1xiPKdS0_PdS1_d
	.p2align	8
	.type	_Z16gpu_chebyshev_1xiPKdS0_PdS1_d,@function
_Z16gpu_chebyshev_1xiPKdS0_PdS1_d:      ; @_Z16gpu_chebyshev_1xiPKdS0_PdS1_d
; %bb.0:
	s_clause 0x1
	s_load_b32 s2, s[0:1], 0x3c
	s_load_b32 s3, s[0:1], 0x0
	s_bfe_u32 s4, ttmp6, 0x4000c
	s_and_b32 s5, ttmp6, 15
	s_add_co_i32 s4, s4, 1
	s_getreg_b32 s6, hwreg(HW_REG_IB_STS2, 6, 4)
	s_mul_i32 s4, ttmp9, s4
	s_delay_alu instid0(SALU_CYCLE_1) | instskip(SKIP_4) | instid1(SALU_CYCLE_1)
	s_add_co_i32 s5, s5, s4
	s_wait_kmcnt 0x0
	s_and_b32 s2, s2, 0xffff
	s_cmp_eq_u32 s6, 0
	s_cselect_b32 s4, ttmp9, s5
	v_mad_u32 v0, s4, s2, v0
	s_mov_b32 s2, exec_lo
	s_delay_alu instid0(VALU_DEP_1)
	v_cmpx_gt_i32_e64 s3, v0
	s_cbranch_execz .LBB5_2
; %bb.1:
	s_load_b256 s[4:11], s[0:1], 0x8
	s_wait_kmcnt 0x0
	s_clause 0x1
	global_load_b64 v[2:3], v0, s[6:7] scale_offset
	global_load_b64 v[4:5], v0, s[4:5] scale_offset
	s_load_b64 s[0:1], s[0:1], 0x28
	s_wait_loadcnt 0x1
	s_wait_kmcnt 0x0
	v_mul_f64_e32 v[2:3], s[0:1], v[2:3]
	s_wait_loadcnt 0x0
	v_mul_f64_e64 v[4:5], v[4:5], -s[0:1]
	s_clause 0x1
	global_store_b64 v0, v[2:3], s[8:9] scale_offset
	global_store_b64 v0, v[4:5], s[10:11] scale_offset
.LBB5_2:
	s_endpgm
	.section	.rodata,"a",@progbits
	.p2align	6, 0x0
	.amdhsa_kernel _Z16gpu_chebyshev_1xiPKdS0_PdS1_d
		.amdhsa_group_segment_fixed_size 0
		.amdhsa_private_segment_fixed_size 0
		.amdhsa_kernarg_size 304
		.amdhsa_user_sgpr_count 2
		.amdhsa_user_sgpr_dispatch_ptr 0
		.amdhsa_user_sgpr_queue_ptr 0
		.amdhsa_user_sgpr_kernarg_segment_ptr 1
		.amdhsa_user_sgpr_dispatch_id 0
		.amdhsa_user_sgpr_kernarg_preload_length 0
		.amdhsa_user_sgpr_kernarg_preload_offset 0
		.amdhsa_user_sgpr_private_segment_size 0
		.amdhsa_wavefront_size32 1
		.amdhsa_uses_dynamic_stack 0
		.amdhsa_enable_private_segment 0
		.amdhsa_system_sgpr_workgroup_id_x 1
		.amdhsa_system_sgpr_workgroup_id_y 0
		.amdhsa_system_sgpr_workgroup_id_z 0
		.amdhsa_system_sgpr_workgroup_info 0
		.amdhsa_system_vgpr_workitem_id 0
		.amdhsa_next_free_vgpr 6
		.amdhsa_next_free_sgpr 12
		.amdhsa_named_barrier_count 0
		.amdhsa_reserve_vcc 0
		.amdhsa_float_round_mode_32 0
		.amdhsa_float_round_mode_16_64 0
		.amdhsa_float_denorm_mode_32 3
		.amdhsa_float_denorm_mode_16_64 3
		.amdhsa_fp16_overflow 0
		.amdhsa_memory_ordered 1
		.amdhsa_forward_progress 1
		.amdhsa_inst_pref_size 2
		.amdhsa_round_robin_scheduling 0
		.amdhsa_exception_fp_ieee_invalid_op 0
		.amdhsa_exception_fp_denorm_src 0
		.amdhsa_exception_fp_ieee_div_zero 0
		.amdhsa_exception_fp_ieee_overflow 0
		.amdhsa_exception_fp_ieee_underflow 0
		.amdhsa_exception_fp_ieee_inexact 0
		.amdhsa_exception_int_div_zero 0
	.end_amdhsa_kernel
	.text
.Lfunc_end5:
	.size	_Z16gpu_chebyshev_1xiPKdS0_PdS1_d, .Lfunc_end5-_Z16gpu_chebyshev_1xiPKdS0_PdS1_d
                                        ; -- End function
	.set _Z16gpu_chebyshev_1xiPKdS0_PdS1_d.num_vgpr, 6
	.set _Z16gpu_chebyshev_1xiPKdS0_PdS1_d.num_agpr, 0
	.set _Z16gpu_chebyshev_1xiPKdS0_PdS1_d.numbered_sgpr, 12
	.set _Z16gpu_chebyshev_1xiPKdS0_PdS1_d.num_named_barrier, 0
	.set _Z16gpu_chebyshev_1xiPKdS0_PdS1_d.private_seg_size, 0
	.set _Z16gpu_chebyshev_1xiPKdS0_PdS1_d.uses_vcc, 0
	.set _Z16gpu_chebyshev_1xiPKdS0_PdS1_d.uses_flat_scratch, 0
	.set _Z16gpu_chebyshev_1xiPKdS0_PdS1_d.has_dyn_sized_stack, 0
	.set _Z16gpu_chebyshev_1xiPKdS0_PdS1_d.has_recursion, 0
	.set _Z16gpu_chebyshev_1xiPKdS0_PdS1_d.has_indirect_call, 0
	.section	.AMDGPU.csdata,"",@progbits
; Kernel info:
; codeLenInByte = 204
; TotalNumSgprs: 12
; NumVgprs: 6
; ScratchSize: 0
; MemoryBound: 0
; FloatMode: 240
; IeeeMode: 1
; LDSByteSize: 0 bytes/workgroup (compile time only)
; SGPRBlocks: 0
; VGPRBlocks: 0
; NumSGPRsForWavesPerEU: 12
; NumVGPRsForWavesPerEU: 6
; NamedBarCnt: 0
; Occupancy: 16
; WaveLimiterHint : 0
; COMPUTE_PGM_RSRC2:SCRATCH_EN: 0
; COMPUTE_PGM_RSRC2:USER_SGPR: 2
; COMPUTE_PGM_RSRC2:TRAP_HANDLER: 0
; COMPUTE_PGM_RSRC2:TGID_X_EN: 1
; COMPUTE_PGM_RSRC2:TGID_Y_EN: 0
; COMPUTE_PGM_RSRC2:TGID_Z_EN: 0
; COMPUTE_PGM_RSRC2:TIDIG_COMP_CNT: 0
	.text
	.protected	_Z16gpu_chebyshev_2xidPKiS0_PKdS2_S2_S2_S2_S2_S2_S2_S2_S2_S2_S2_PdS3_S3_S3_S3_S3_di ; -- Begin function _Z16gpu_chebyshev_2xidPKiS0_PKdS2_S2_S2_S2_S2_S2_S2_S2_S2_S2_S2_PdS3_S3_S3_S3_S3_di
	.globl	_Z16gpu_chebyshev_2xidPKiS0_PKdS2_S2_S2_S2_S2_S2_S2_S2_S2_S2_S2_PdS3_S3_S3_S3_S3_di
	.p2align	8
	.type	_Z16gpu_chebyshev_2xidPKiS0_PKdS2_S2_S2_S2_S2_S2_S2_S2_S2_S2_S2_PdS3_S3_S3_S3_S3_di,@function
_Z16gpu_chebyshev_2xidPKiS0_PKdS2_S2_S2_S2_S2_S2_S2_S2_S2_S2_S2_PdS3_S3_S3_S3_S3_di: ; @_Z16gpu_chebyshev_2xidPKiS0_PKdS2_S2_S2_S2_S2_S2_S2_S2_S2_S2_S2_PdS3_S3_S3_S3_S3_di
; %bb.0:
	s_clause 0x1
	s_load_b32 s2, s[0:1], 0xcc
	s_load_b32 s18, s[0:1], 0x0
	s_bfe_u32 s3, ttmp6, 0x4000c
	s_and_b32 s4, ttmp6, 15
	s_add_co_i32 s3, s3, 1
	s_getreg_b32 s5, hwreg(HW_REG_IB_STS2, 6, 4)
	s_mul_i32 s3, ttmp9, s3
	s_delay_alu instid0(SALU_CYCLE_1) | instskip(SKIP_4) | instid1(SALU_CYCLE_1)
	s_add_co_i32 s4, s4, s3
	s_wait_kmcnt 0x0
	s_and_b32 s2, s2, 0xffff
	s_cmp_eq_u32 s5, 0
	s_cselect_b32 s3, ttmp9, s4
	v_mad_u32 v8, s3, s2, v0
	s_mov_b32 s2, exec_lo
	s_delay_alu instid0(VALU_DEP_1)
	v_cmpx_gt_i32_e64 s18, v8
	s_cbranch_execz .LBB6_19
; %bb.1:
	s_clause 0x1
	s_load_b64 s[2:3], s[0:1], 0x20
	s_load_b256 s[4:11], s[0:1], 0x60
	s_mov_b32 s19, exec_lo
	s_wait_kmcnt 0x0
	s_clause 0x4
	global_load_b64 v[6:7], v8, s[2:3] scale_offset
	global_load_b64 v[0:1], v8, s[4:5] scale_offset
	;; [unrolled: 1-line block ×5, first 2 shown]
	s_wait_xcnt 0x4
	s_load_b64 s[2:3], s[0:1], 0x10
	v_ashrrev_i32_e32 v9, 31, v8
	s_wait_kmcnt 0x0
	global_load_b32 v10, v8, s[2:3] scale_offset
	s_wait_loadcnt 0x4
	v_mul_f64_e32 v[0:1], v[6:7], v[0:1]
	s_wait_loadcnt 0x3
	v_mul_f64_e32 v[2:3], v[6:7], v[2:3]
	;; [unrolled: 2-line block ×4, first 2 shown]
	s_wait_loadcnt 0x0
	v_cmpx_lt_i32_e32 0, v10
	s_cbranch_execz .LBB6_5
; %bb.2:
	s_clause 0x2
	s_load_b64 s[2:3], s[0:1], 0x18
	s_load_b128 s[12:15], s[0:1], 0x28
	s_load_b64 s[16:17], s[0:1], 0x38
	v_mov_b32_e32 v11, v8
	s_mov_b32 s20, 0
.LBB6_3:                                ; =>This Inner Loop Header: Depth=1
	s_wait_kmcnt 0x0
	s_clause 0x3
	global_load_b32 v26, v11, s[2:3] scale_offset
	global_load_b64 v[12:13], v11, s[12:13] scale_offset
	global_load_b64 v[14:15], v11, s[14:15] scale_offset
	;; [unrolled: 1-line block ×3, first 2 shown]
	s_wait_loadcnt 0x3
	s_clause 0x3
	global_load_b64 v[18:19], v26, s[10:11] scale_offset
	global_load_b64 v[20:21], v26, s[6:7] scale_offset
	global_load_b64 v[22:23], v26, s[8:9] scale_offset
	global_load_b64 v[24:25], v26, s[4:5] scale_offset
	s_wait_xcnt 0x4
	v_dual_add_nc_u32 v10, -1, v10 :: v_dual_add_nc_u32 v11, s18, v11
	s_delay_alu instid0(VALU_DEP_1)
	v_cmp_eq_u32_e32 vcc_lo, 0, v10
	s_or_b32 s20, vcc_lo, s20
	s_wait_loadcnt 0x3
	s_wait_xcnt 0x0
	v_mul_f64_e32 v[26:27], v[14:15], v[18:19]
	v_mul_f64_e32 v[18:19], v[12:13], v[18:19]
	s_wait_loadcnt 0x2
	v_mul_f64_e32 v[28:29], v[14:15], v[20:21]
	v_mul_f64_e32 v[20:21], v[12:13], v[20:21]
	s_wait_loadcnt 0x1
	s_delay_alu instid0(VALU_DEP_4) | instskip(NEXT) | instid1(VALU_DEP_4)
	v_fma_f64 v[26:27], v[12:13], v[22:23], -v[26:27]
	v_fmac_f64_e32 v[18:19], v[14:15], v[22:23]
	s_wait_loadcnt 0x0
	s_delay_alu instid0(VALU_DEP_4) | instskip(NEXT) | instid1(VALU_DEP_4)
	v_fma_f64 v[12:13], v[12:13], v[24:25], -v[28:29]
	v_fmac_f64_e32 v[20:21], v[14:15], v[24:25]
	s_delay_alu instid0(VALU_DEP_4) | instskip(NEXT) | instid1(VALU_DEP_4)
	v_add_f64_e32 v[4:5], v[4:5], v[26:27]
	v_add_f64_e32 v[6:7], v[6:7], v[18:19]
	s_delay_alu instid0(VALU_DEP_4) | instskip(NEXT) | instid1(VALU_DEP_4)
	v_add_f64_e32 v[0:1], v[0:1], v[12:13]
	v_add_f64_e32 v[2:3], v[2:3], v[20:21]
	s_delay_alu instid0(VALU_DEP_4) | instskip(NEXT) | instid1(VALU_DEP_4)
	v_fma_f64 v[4:5], -v[12:13], v[16:17], v[4:5]
	v_fma_f64 v[6:7], -v[20:21], v[16:17], v[6:7]
	s_and_not1_b32 exec_lo, exec_lo, s20
	s_cbranch_execnz .LBB6_3
; %bb.4:
	s_or_b32 exec_lo, exec_lo, s20
.LBB6_5:
	s_delay_alu instid0(SALU_CYCLE_1)
	s_or_b32 exec_lo, exec_lo, s19
	s_clause 0x3
	s_load_b128 s[24:27], s[0:1], 0xa0
	s_load_b256 s[8:15], s[0:1], 0x80
	s_load_b256 s[16:23], s[0:1], 0x40
	s_load_b64 s[6:7], s[0:1], 0x8
	v_lshlrev_b64_e32 v[8:9], 3, v[8:9]
	s_wait_kmcnt 0x0
	s_delay_alu instid0(VALU_DEP_1)
	v_add_nc_u64_e32 v[10:11], s[16:17], v[8:9]
	v_div_scale_f64 v[12:13], null, s[6:7], s[6:7], v[0:1]
	v_div_scale_f64 v[16:17], null, s[6:7], s[6:7], v[2:3]
	;; [unrolled: 1-line block ×3, first 2 shown]
	v_add_nc_u64_e32 v[14:15], s[18:19], v[8:9]
	v_div_scale_f64 v[24:25], null, s[6:7], s[6:7], v[6:7]
	v_add_nc_u64_e32 v[18:19], s[20:21], v[8:9]
	v_add_nc_u64_e32 v[22:23], s[22:23], v[8:9]
	global_load_b64 v[26:27], v[10:11], off
	global_load_b64 v[28:29], v[14:15], off
	;; [unrolled: 1-line block ×4, first 2 shown]
	v_div_scale_f64 v[42:43], vcc_lo, v[0:1], s[6:7], v[0:1]
	s_wait_xcnt 0x3
	v_rcp_f64_e32 v[10:11], v[12:13]
	s_wait_xcnt 0x2
	v_rcp_f64_e32 v[14:15], v[16:17]
	;; [unrolled: 2-line block ×4, first 2 shown]
	v_fma_f64 v[34:35], -v[12:13], v[10:11], 1.0
	s_delay_alu instid0(TRANS32_DEP_3) | instskip(NEXT) | instid1(TRANS32_DEP_2)
	v_fma_f64 v[36:37], -v[16:17], v[14:15], 1.0
	v_fma_f64 v[38:39], -v[20:21], v[18:19], 1.0
	s_delay_alu instid0(TRANS32_DEP_1) | instskip(NEXT) | instid1(VALU_DEP_4)
	v_fma_f64 v[40:41], -v[24:25], v[22:23], 1.0
	v_fmac_f64_e32 v[10:11], v[10:11], v[34:35]
	s_delay_alu instid0(VALU_DEP_4) | instskip(NEXT) | instid1(VALU_DEP_4)
	v_fmac_f64_e32 v[14:15], v[14:15], v[36:37]
	v_fmac_f64_e32 v[18:19], v[18:19], v[38:39]
	s_delay_alu instid0(VALU_DEP_4) | instskip(NEXT) | instid1(VALU_DEP_4)
	v_fmac_f64_e32 v[22:23], v[22:23], v[40:41]
	v_fma_f64 v[34:35], -v[12:13], v[10:11], 1.0
	s_delay_alu instid0(VALU_DEP_4) | instskip(NEXT) | instid1(VALU_DEP_4)
	v_fma_f64 v[36:37], -v[16:17], v[14:15], 1.0
	v_fma_f64 v[38:39], -v[20:21], v[18:19], 1.0
	s_delay_alu instid0(VALU_DEP_4) | instskip(NEXT) | instid1(VALU_DEP_4)
	v_fma_f64 v[40:41], -v[24:25], v[22:23], 1.0
	v_fmac_f64_e32 v[10:11], v[10:11], v[34:35]
	v_div_scale_f64 v[34:35], s2, v[2:3], s[6:7], v[2:3]
	v_fmac_f64_e32 v[14:15], v[14:15], v[36:37]
	v_div_scale_f64 v[36:37], s3, v[4:5], s[6:7], v[4:5]
	;; [unrolled: 2-line block ×3, first 2 shown]
	v_fmac_f64_e32 v[22:23], v[22:23], v[40:41]
	v_mul_f64_e32 v[40:41], v[42:43], v[10:11]
	v_mul_f64_e32 v[44:45], v[34:35], v[14:15]
	;; [unrolled: 1-line block ×3, first 2 shown]
	s_delay_alu instid0(VALU_DEP_4) | instskip(NEXT) | instid1(VALU_DEP_4)
	v_mul_f64_e32 v[48:49], v[38:39], v[22:23]
	v_fma_f64 v[12:13], -v[12:13], v[40:41], v[42:43]
	s_delay_alu instid0(VALU_DEP_4) | instskip(NEXT) | instid1(VALU_DEP_4)
	v_fma_f64 v[16:17], -v[16:17], v[44:45], v[34:35]
	v_fma_f64 v[20:21], -v[20:21], v[46:47], v[36:37]
	s_delay_alu instid0(VALU_DEP_4) | instskip(NEXT) | instid1(VALU_DEP_4)
	v_fma_f64 v[24:25], -v[24:25], v[48:49], v[38:39]
	v_div_fmas_f64 v[10:11], v[12:13], v[10:11], v[40:41]
	s_mov_b32 vcc_lo, s2
	s_load_b96 s[0:2], s[0:1], 0xb0
	s_delay_alu instid0(VALU_DEP_4) | instskip(SKIP_2) | instid1(VALU_DEP_4)
	v_div_fmas_f64 v[12:13], v[16:17], v[14:15], v[44:45]
	s_mov_b32 vcc_lo, s3
	s_mov_b32 s3, -1
	v_div_fmas_f64 v[14:15], v[20:21], v[18:19], v[46:47]
	s_mov_b32 vcc_lo, s4
	s_delay_alu instid0(VALU_DEP_4) | instskip(SKIP_2) | instid1(VALU_DEP_4)
	v_div_fmas_f64 v[16:17], v[24:25], v[22:23], v[48:49]
	s_wait_kmcnt 0x0
	s_cmp_lt_i32 s2, 3
	v_div_fixup_f64 v[0:1], v[10:11], s[6:7], v[0:1]
	s_delay_alu instid0(VALU_DEP_4) | instskip(NEXT) | instid1(VALU_DEP_4)
	v_div_fixup_f64 v[2:3], v[12:13], s[6:7], v[2:3]
	v_div_fixup_f64 v[4:5], v[14:15], s[6:7], v[4:5]
	v_add_nc_u64_e32 v[14:15], s[12:13], v[8:9]
	v_div_fixup_f64 v[6:7], v[16:17], s[6:7], v[6:7]
	v_add_nc_u64_e32 v[16:17], s[14:15], v[8:9]
	s_wait_loadcnt 0x3
	v_fma_f64 v[10:11], v[0:1], 2.0, -v[26:27]
	s_wait_loadcnt 0x2
	v_fma_f64 v[12:13], v[2:3], 2.0, -v[28:29]
	;; [unrolled: 2-line block ×3, first 2 shown]
	v_add_nc_u64_e32 v[4:5], s[8:9], v[8:9]
	s_wait_loadcnt 0x0
	v_fma_f64 v[0:1], v[6:7], 2.0, -v[32:33]
	v_add_nc_u64_e32 v[6:7], s[10:11], v[8:9]
	global_store_b64 v[4:5], v[10:11], off
	global_store_b64 v[6:7], v[12:13], off
	;; [unrolled: 1-line block ×4, first 2 shown]
	s_cbranch_scc1 .LBB6_13
; %bb.6:
	s_cmp_lt_i32 s2, 4
	s_cbranch_scc1 .LBB6_10
; %bb.7:
	s_cmp_eq_u32 s2, 4
	s_cbranch_scc0 .LBB6_9
; %bb.8:
	s_wait_xcnt 0x3
	v_add_nc_u64_e32 v[4:5], s[24:25], v[8:9]
	s_wait_xcnt 0x2
	v_add_nc_u64_e32 v[6:7], s[26:27], v[8:9]
	global_load_b64 v[10:11], v[4:5], off
	global_load_b64 v[12:13], v[6:7], off
	s_wait_loadcnt 0x1
	v_fma_f64 v[10:11], -s[0:1], v[0:1], v[10:11]
	s_wait_loadcnt 0x0
	v_fmac_f64_e32 v[12:13], s[0:1], v[2:3]
	global_store_b64 v[4:5], v[10:11], off
	global_store_b64 v[6:7], v[12:13], off
.LBB6_9:
	s_mov_b32 s3, 0
.LBB6_10:
	s_delay_alu instid0(SALU_CYCLE_1)
	s_and_not1_b32 vcc_lo, exec_lo, s3
	s_cbranch_vccnz .LBB6_12
; %bb.11:
	s_wait_xcnt 0x1
	v_add_nc_u64_e32 v[4:5], s[24:25], v[8:9]
	s_wait_xcnt 0x0
	v_add_nc_u64_e32 v[6:7], s[26:27], v[8:9]
	global_load_b64 v[10:11], v[4:5], off
	global_load_b64 v[12:13], v[6:7], off
	s_wait_loadcnt 0x1
	v_fmac_f64_e32 v[10:11], s[0:1], v[0:1]
	s_wait_loadcnt 0x0
	v_fma_f64 v[12:13], -s[0:1], v[2:3], v[12:13]
	global_store_b64 v[4:5], v[10:11], off
	global_store_b64 v[6:7], v[12:13], off
.LBB6_12:
	s_mov_b32 s3, 0
.LBB6_13:
	s_delay_alu instid0(SALU_CYCLE_1)
	s_and_not1_b32 vcc_lo, exec_lo, s3
	s_cbranch_vccnz .LBB6_19
; %bb.14:
	s_cmp_gt_i32 s2, 1
	s_mov_b32 s3, -1
	s_cbranch_scc0 .LBB6_16
; %bb.15:
	s_wait_xcnt 0x1
	v_add_nc_u64_e32 v[4:5], s[24:25], v[8:9]
	s_wait_xcnt 0x0
	v_add_nc_u64_e32 v[6:7], s[26:27], v[8:9]
	s_mov_b32 s3, 0
	global_load_b64 v[10:11], v[4:5], off
	global_load_b64 v[12:13], v[6:7], off
	s_wait_loadcnt 0x1
	v_fma_f64 v[10:11], -s[0:1], v[2:3], v[10:11]
	s_wait_loadcnt 0x0
	v_fma_f64 v[12:13], -s[0:1], v[0:1], v[12:13]
	global_store_b64 v[4:5], v[10:11], off
	global_store_b64 v[6:7], v[12:13], off
.LBB6_16:
	s_and_not1_b32 vcc_lo, exec_lo, s3
	s_cbranch_vccnz .LBB6_19
; %bb.17:
	s_cmp_eq_u32 s2, 1
	s_cbranch_scc0 .LBB6_19
; %bb.18:
	s_wait_xcnt 0x1
	v_add_nc_u64_e32 v[4:5], s[24:25], v[8:9]
	s_wait_xcnt 0x0
	v_add_nc_u64_e32 v[6:7], s[26:27], v[8:9]
	global_load_b64 v[8:9], v[4:5], off
	global_load_b64 v[10:11], v[6:7], off
	s_wait_loadcnt 0x1
	v_fmac_f64_e32 v[8:9], s[0:1], v[2:3]
	s_wait_loadcnt 0x0
	v_fmac_f64_e32 v[10:11], s[0:1], v[0:1]
	global_store_b64 v[4:5], v[8:9], off
	global_store_b64 v[6:7], v[10:11], off
.LBB6_19:
	s_endpgm
	.section	.rodata,"a",@progbits
	.p2align	6, 0x0
	.amdhsa_kernel _Z16gpu_chebyshev_2xidPKiS0_PKdS2_S2_S2_S2_S2_S2_S2_S2_S2_S2_S2_PdS3_S3_S3_S3_S3_di
		.amdhsa_group_segment_fixed_size 0
		.amdhsa_private_segment_fixed_size 0
		.amdhsa_kernarg_size 448
		.amdhsa_user_sgpr_count 2
		.amdhsa_user_sgpr_dispatch_ptr 0
		.amdhsa_user_sgpr_queue_ptr 0
		.amdhsa_user_sgpr_kernarg_segment_ptr 1
		.amdhsa_user_sgpr_dispatch_id 0
		.amdhsa_user_sgpr_kernarg_preload_length 0
		.amdhsa_user_sgpr_kernarg_preload_offset 0
		.amdhsa_user_sgpr_private_segment_size 0
		.amdhsa_wavefront_size32 1
		.amdhsa_uses_dynamic_stack 0
		.amdhsa_enable_private_segment 0
		.amdhsa_system_sgpr_workgroup_id_x 1
		.amdhsa_system_sgpr_workgroup_id_y 0
		.amdhsa_system_sgpr_workgroup_id_z 0
		.amdhsa_system_sgpr_workgroup_info 0
		.amdhsa_system_vgpr_workitem_id 0
		.amdhsa_next_free_vgpr 50
		.amdhsa_next_free_sgpr 28
		.amdhsa_named_barrier_count 0
		.amdhsa_reserve_vcc 1
		.amdhsa_float_round_mode_32 0
		.amdhsa_float_round_mode_16_64 0
		.amdhsa_float_denorm_mode_32 3
		.amdhsa_float_denorm_mode_16_64 3
		.amdhsa_fp16_overflow 0
		.amdhsa_memory_ordered 1
		.amdhsa_forward_progress 1
		.amdhsa_inst_pref_size 13
		.amdhsa_round_robin_scheduling 0
		.amdhsa_exception_fp_ieee_invalid_op 0
		.amdhsa_exception_fp_denorm_src 0
		.amdhsa_exception_fp_ieee_div_zero 0
		.amdhsa_exception_fp_ieee_overflow 0
		.amdhsa_exception_fp_ieee_underflow 0
		.amdhsa_exception_fp_ieee_inexact 0
		.amdhsa_exception_int_div_zero 0
	.end_amdhsa_kernel
	.text
.Lfunc_end6:
	.size	_Z16gpu_chebyshev_2xidPKiS0_PKdS2_S2_S2_S2_S2_S2_S2_S2_S2_S2_S2_PdS3_S3_S3_S3_S3_di, .Lfunc_end6-_Z16gpu_chebyshev_2xidPKiS0_PKdS2_S2_S2_S2_S2_S2_S2_S2_S2_S2_S2_PdS3_S3_S3_S3_S3_di
                                        ; -- End function
	.set _Z16gpu_chebyshev_2xidPKiS0_PKdS2_S2_S2_S2_S2_S2_S2_S2_S2_S2_S2_PdS3_S3_S3_S3_S3_di.num_vgpr, 50
	.set _Z16gpu_chebyshev_2xidPKiS0_PKdS2_S2_S2_S2_S2_S2_S2_S2_S2_S2_S2_PdS3_S3_S3_S3_S3_di.num_agpr, 0
	.set _Z16gpu_chebyshev_2xidPKiS0_PKdS2_S2_S2_S2_S2_S2_S2_S2_S2_S2_S2_PdS3_S3_S3_S3_S3_di.numbered_sgpr, 28
	.set _Z16gpu_chebyshev_2xidPKiS0_PKdS2_S2_S2_S2_S2_S2_S2_S2_S2_S2_S2_PdS3_S3_S3_S3_S3_di.num_named_barrier, 0
	.set _Z16gpu_chebyshev_2xidPKiS0_PKdS2_S2_S2_S2_S2_S2_S2_S2_S2_S2_S2_PdS3_S3_S3_S3_S3_di.private_seg_size, 0
	.set _Z16gpu_chebyshev_2xidPKiS0_PKdS2_S2_S2_S2_S2_S2_S2_S2_S2_S2_S2_PdS3_S3_S3_S3_S3_di.uses_vcc, 1
	.set _Z16gpu_chebyshev_2xidPKiS0_PKdS2_S2_S2_S2_S2_S2_S2_S2_S2_S2_S2_PdS3_S3_S3_S3_S3_di.uses_flat_scratch, 0
	.set _Z16gpu_chebyshev_2xidPKiS0_PKdS2_S2_S2_S2_S2_S2_S2_S2_S2_S2_S2_PdS3_S3_S3_S3_S3_di.has_dyn_sized_stack, 0
	.set _Z16gpu_chebyshev_2xidPKiS0_PKdS2_S2_S2_S2_S2_S2_S2_S2_S2_S2_S2_PdS3_S3_S3_S3_S3_di.has_recursion, 0
	.set _Z16gpu_chebyshev_2xidPKiS0_PKdS2_S2_S2_S2_S2_S2_S2_S2_S2_S2_S2_PdS3_S3_S3_S3_S3_di.has_indirect_call, 0
	.section	.AMDGPU.csdata,"",@progbits
; Kernel info:
; codeLenInByte = 1608
; TotalNumSgprs: 30
; NumVgprs: 50
; ScratchSize: 0
; MemoryBound: 0
; FloatMode: 240
; IeeeMode: 1
; LDSByteSize: 0 bytes/workgroup (compile time only)
; SGPRBlocks: 0
; VGPRBlocks: 3
; NumSGPRsForWavesPerEU: 30
; NumVGPRsForWavesPerEU: 50
; NamedBarCnt: 0
; Occupancy: 16
; WaveLimiterHint : 1
; COMPUTE_PGM_RSRC2:SCRATCH_EN: 0
; COMPUTE_PGM_RSRC2:USER_SGPR: 2
; COMPUTE_PGM_RSRC2:TRAP_HANDLER: 0
; COMPUTE_PGM_RSRC2:TGID_X_EN: 1
; COMPUTE_PGM_RSRC2:TGID_Y_EN: 0
; COMPUTE_PGM_RSRC2:TGID_Z_EN: 0
; COMPUTE_PGM_RSRC2:TIDIG_COMP_CNT: 0
	.text
	.protected	_Z21gpu_kernel_polynomialidPKiS0_PKdS2_S2_S2_S2_S2_S2_PdS3_ ; -- Begin function _Z21gpu_kernel_polynomialidPKiS0_PKdS2_S2_S2_S2_S2_S2_PdS3_
	.globl	_Z21gpu_kernel_polynomialidPKiS0_PKdS2_S2_S2_S2_S2_S2_PdS3_
	.p2align	8
	.type	_Z21gpu_kernel_polynomialidPKiS0_PKdS2_S2_S2_S2_S2_S2_PdS3_,@function
_Z21gpu_kernel_polynomialidPKiS0_PKdS2_S2_S2_S2_S2_S2_PdS3_: ; @_Z21gpu_kernel_polynomialidPKiS0_PKdS2_S2_S2_S2_S2_S2_PdS3_
; %bb.0:
	s_clause 0x1
	s_load_b32 s2, s[0:1], 0x74
	s_load_b32 s12, s[0:1], 0x0
	s_bfe_u32 s3, ttmp6, 0x4000c
	s_and_b32 s4, ttmp6, 15
	s_add_co_i32 s3, s3, 1
	s_getreg_b32 s5, hwreg(HW_REG_IB_STS2, 6, 4)
	s_mul_i32 s3, ttmp9, s3
	s_delay_alu instid0(SALU_CYCLE_1) | instskip(SKIP_4) | instid1(SALU_CYCLE_1)
	s_add_co_i32 s4, s4, s3
	s_wait_kmcnt 0x0
	s_and_b32 s2, s2, 0xffff
	s_cmp_eq_u32 s5, 0
	s_cselect_b32 s3, ttmp9, s4
	v_mad_u32 v4, s3, s2, v0
	s_mov_b32 s2, exec_lo
	s_delay_alu instid0(VALU_DEP_1)
	v_cmpx_gt_i32_e64 s12, v4
	s_cbranch_execz .LBB7_6
; %bb.1:
	s_clause 0x1
	s_load_b64 s[2:3], s[0:1], 0x20
	s_load_b128 s[4:7], s[0:1], 0x48
	v_ashrrev_i32_e32 v5, 31, v4
	s_mov_b32 s13, exec_lo
	s_wait_kmcnt 0x0
	s_clause 0x2
	global_load_b64 v[2:3], v4, s[2:3] scale_offset
	global_load_b64 v[0:1], v4, s[4:5] scale_offset
	;; [unrolled: 1-line block ×3, first 2 shown]
	s_wait_xcnt 0x2
	s_load_b64 s[2:3], s[0:1], 0x10
	s_wait_kmcnt 0x0
	global_load_b32 v6, v4, s[2:3] scale_offset
	s_wait_loadcnt 0x2
	v_mul_f64_e32 v[0:1], v[2:3], v[0:1]
	s_wait_loadcnt 0x1
	v_mul_f64_e32 v[2:3], v[2:3], v[8:9]
	s_wait_loadcnt 0x0
	v_cmpx_lt_i32_e32 0, v6
	s_cbranch_execz .LBB7_5
; %bb.2:
	s_clause 0x1
	s_load_b64 s[2:3], s[0:1], 0x18
	s_load_b128 s[8:11], s[0:1], 0x28
	v_mov_b32_e32 v7, v4
	s_mov_b32 s14, 0
.LBB7_3:                                ; =>This Inner Loop Header: Depth=1
	s_wait_kmcnt 0x0
	s_clause 0x2
	global_load_b32 v16, v7, s[2:3] scale_offset
	global_load_b64 v[8:9], v7, s[8:9] scale_offset
	global_load_b64 v[10:11], v7, s[10:11] scale_offset
	s_wait_loadcnt 0x2
	s_clause 0x1
	global_load_b64 v[12:13], v16, s[6:7] scale_offset
	global_load_b64 v[14:15], v16, s[4:5] scale_offset
	s_wait_xcnt 0x2
	v_dual_add_nc_u32 v6, -1, v6 :: v_dual_add_nc_u32 v7, s12, v7
	s_delay_alu instid0(VALU_DEP_1)
	v_cmp_eq_u32_e32 vcc_lo, 0, v6
	s_or_b32 s14, vcc_lo, s14
	s_wait_loadcnt 0x1
	s_wait_xcnt 0x0
	v_mul_f64_e32 v[16:17], v[10:11], v[12:13]
	v_mul_f64_e32 v[12:13], v[8:9], v[12:13]
	s_wait_loadcnt 0x0
	s_delay_alu instid0(VALU_DEP_2) | instskip(NEXT) | instid1(VALU_DEP_2)
	v_fma_f64 v[8:9], v[8:9], v[14:15], -v[16:17]
	v_fmac_f64_e32 v[12:13], v[10:11], v[14:15]
	s_delay_alu instid0(VALU_DEP_2) | instskip(NEXT) | instid1(VALU_DEP_2)
	v_add_f64_e32 v[0:1], v[0:1], v[8:9]
	v_add_f64_e32 v[2:3], v[2:3], v[12:13]
	s_and_not1_b32 exec_lo, exec_lo, s14
	s_cbranch_execnz .LBB7_3
; %bb.4:
	s_or_b32 exec_lo, exec_lo, s14
.LBB7_5:
	s_delay_alu instid0(SALU_CYCLE_1)
	s_or_b32 exec_lo, exec_lo, s13
	s_clause 0x2
	s_load_b128 s[4:7], s[0:1], 0x58
	s_load_b128 s[8:11], s[0:1], 0x38
	s_load_b64 s[2:3], s[0:1], 0x8
	v_lshlrev_b64_e32 v[4:5], 3, v[4:5]
	s_wait_kmcnt 0x0
	s_delay_alu instid0(VALU_DEP_1) | instskip(NEXT) | instid1(VALU_DEP_4)
	v_add_nc_u64_e32 v[6:7], s[8:9], v[4:5]
	v_div_scale_f64 v[8:9], null, s[2:3], s[2:3], v[0:1]
	v_add_nc_u64_e32 v[10:11], s[10:11], v[4:5]
	v_div_scale_f64 v[12:13], null, s[2:3], s[2:3], v[2:3]
	v_div_scale_f64 v[22:23], vcc_lo, v[0:1], s[2:3], v[0:1]
	global_load_b64 v[14:15], v[6:7], off
	global_load_b64 v[16:17], v[10:11], off
	s_wait_xcnt 0x1
	v_rcp_f64_e32 v[6:7], v[8:9]
	s_wait_xcnt 0x0
	v_rcp_f64_e32 v[10:11], v[12:13]
	s_delay_alu instid0(TRANS32_DEP_2) | instskip(NEXT) | instid1(TRANS32_DEP_1)
	v_fma_f64 v[18:19], -v[8:9], v[6:7], 1.0
	v_fma_f64 v[20:21], -v[12:13], v[10:11], 1.0
	s_delay_alu instid0(VALU_DEP_2) | instskip(NEXT) | instid1(VALU_DEP_2)
	v_fmac_f64_e32 v[6:7], v[6:7], v[18:19]
	v_fmac_f64_e32 v[10:11], v[10:11], v[20:21]
	s_delay_alu instid0(VALU_DEP_2) | instskip(NEXT) | instid1(VALU_DEP_2)
	v_fma_f64 v[18:19], -v[8:9], v[6:7], 1.0
	v_fma_f64 v[20:21], -v[12:13], v[10:11], 1.0
	s_delay_alu instid0(VALU_DEP_2) | instskip(SKIP_1) | instid1(VALU_DEP_3)
	v_fmac_f64_e32 v[6:7], v[6:7], v[18:19]
	v_div_scale_f64 v[18:19], s0, v[2:3], s[2:3], v[2:3]
	v_fmac_f64_e32 v[10:11], v[10:11], v[20:21]
	s_delay_alu instid0(VALU_DEP_3) | instskip(NEXT) | instid1(VALU_DEP_2)
	v_mul_f64_e32 v[20:21], v[22:23], v[6:7]
	v_mul_f64_e32 v[24:25], v[18:19], v[10:11]
	s_delay_alu instid0(VALU_DEP_2) | instskip(NEXT) | instid1(VALU_DEP_2)
	v_fma_f64 v[8:9], -v[8:9], v[20:21], v[22:23]
	v_fma_f64 v[12:13], -v[12:13], v[24:25], v[18:19]
	s_delay_alu instid0(VALU_DEP_2) | instskip(SKIP_1) | instid1(VALU_DEP_2)
	v_div_fmas_f64 v[6:7], v[8:9], v[6:7], v[20:21]
	s_mov_b32 vcc_lo, s0
	v_div_fmas_f64 v[8:9], v[12:13], v[10:11], v[24:25]
	s_delay_alu instid0(VALU_DEP_2) | instskip(SKIP_2) | instid1(VALU_DEP_4)
	v_div_fixup_f64 v[0:1], v[6:7], s[2:3], v[0:1]
	v_add_nc_u64_e32 v[6:7], s[4:5], v[4:5]
	v_add_nc_u64_e32 v[4:5], s[6:7], v[4:5]
	v_div_fixup_f64 v[2:3], v[8:9], s[2:3], v[2:3]
	s_wait_loadcnt 0x1
	s_delay_alu instid0(VALU_DEP_4) | instskip(SKIP_1) | instid1(VALU_DEP_2)
	v_fma_f64 v[0:1], v[0:1], 2.0, -v[14:15]
	s_wait_loadcnt 0x0
	v_fma_f64 v[2:3], v[2:3], 2.0, -v[16:17]
	global_store_b64 v[6:7], v[0:1], off
	global_store_b64 v[4:5], v[2:3], off
.LBB7_6:
	s_endpgm
	.section	.rodata,"a",@progbits
	.p2align	6, 0x0
	.amdhsa_kernel _Z21gpu_kernel_polynomialidPKiS0_PKdS2_S2_S2_S2_S2_S2_PdS3_
		.amdhsa_group_segment_fixed_size 0
		.amdhsa_private_segment_fixed_size 0
		.amdhsa_kernarg_size 360
		.amdhsa_user_sgpr_count 2
		.amdhsa_user_sgpr_dispatch_ptr 0
		.amdhsa_user_sgpr_queue_ptr 0
		.amdhsa_user_sgpr_kernarg_segment_ptr 1
		.amdhsa_user_sgpr_dispatch_id 0
		.amdhsa_user_sgpr_kernarg_preload_length 0
		.amdhsa_user_sgpr_kernarg_preload_offset 0
		.amdhsa_user_sgpr_private_segment_size 0
		.amdhsa_wavefront_size32 1
		.amdhsa_uses_dynamic_stack 0
		.amdhsa_enable_private_segment 0
		.amdhsa_system_sgpr_workgroup_id_x 1
		.amdhsa_system_sgpr_workgroup_id_y 0
		.amdhsa_system_sgpr_workgroup_id_z 0
		.amdhsa_system_sgpr_workgroup_info 0
		.amdhsa_system_vgpr_workitem_id 0
		.amdhsa_next_free_vgpr 26
		.amdhsa_next_free_sgpr 15
		.amdhsa_named_barrier_count 0
		.amdhsa_reserve_vcc 1
		.amdhsa_float_round_mode_32 0
		.amdhsa_float_round_mode_16_64 0
		.amdhsa_float_denorm_mode_32 3
		.amdhsa_float_denorm_mode_16_64 3
		.amdhsa_fp16_overflow 0
		.amdhsa_memory_ordered 1
		.amdhsa_forward_progress 1
		.amdhsa_inst_pref_size 6
		.amdhsa_round_robin_scheduling 0
		.amdhsa_exception_fp_ieee_invalid_op 0
		.amdhsa_exception_fp_denorm_src 0
		.amdhsa_exception_fp_ieee_div_zero 0
		.amdhsa_exception_fp_ieee_overflow 0
		.amdhsa_exception_fp_ieee_underflow 0
		.amdhsa_exception_fp_ieee_inexact 0
		.amdhsa_exception_int_div_zero 0
	.end_amdhsa_kernel
	.text
.Lfunc_end7:
	.size	_Z21gpu_kernel_polynomialidPKiS0_PKdS2_S2_S2_S2_S2_S2_PdS3_, .Lfunc_end7-_Z21gpu_kernel_polynomialidPKiS0_PKdS2_S2_S2_S2_S2_S2_PdS3_
                                        ; -- End function
	.set _Z21gpu_kernel_polynomialidPKiS0_PKdS2_S2_S2_S2_S2_S2_PdS3_.num_vgpr, 26
	.set _Z21gpu_kernel_polynomialidPKiS0_PKdS2_S2_S2_S2_S2_S2_PdS3_.num_agpr, 0
	.set _Z21gpu_kernel_polynomialidPKiS0_PKdS2_S2_S2_S2_S2_S2_PdS3_.numbered_sgpr, 15
	.set _Z21gpu_kernel_polynomialidPKiS0_PKdS2_S2_S2_S2_S2_S2_PdS3_.num_named_barrier, 0
	.set _Z21gpu_kernel_polynomialidPKiS0_PKdS2_S2_S2_S2_S2_S2_PdS3_.private_seg_size, 0
	.set _Z21gpu_kernel_polynomialidPKiS0_PKdS2_S2_S2_S2_S2_S2_PdS3_.uses_vcc, 1
	.set _Z21gpu_kernel_polynomialidPKiS0_PKdS2_S2_S2_S2_S2_S2_PdS3_.uses_flat_scratch, 0
	.set _Z21gpu_kernel_polynomialidPKiS0_PKdS2_S2_S2_S2_S2_S2_PdS3_.has_dyn_sized_stack, 0
	.set _Z21gpu_kernel_polynomialidPKiS0_PKdS2_S2_S2_S2_S2_S2_PdS3_.has_recursion, 0
	.set _Z21gpu_kernel_polynomialidPKiS0_PKdS2_S2_S2_S2_S2_S2_PdS3_.has_indirect_call, 0
	.section	.AMDGPU.csdata,"",@progbits
; Kernel info:
; codeLenInByte = 752
; TotalNumSgprs: 17
; NumVgprs: 26
; ScratchSize: 0
; MemoryBound: 0
; FloatMode: 240
; IeeeMode: 1
; LDSByteSize: 0 bytes/workgroup (compile time only)
; SGPRBlocks: 0
; VGPRBlocks: 1
; NumSGPRsForWavesPerEU: 17
; NumVGPRsForWavesPerEU: 26
; NamedBarCnt: 0
; Occupancy: 16
; WaveLimiterHint : 1
; COMPUTE_PGM_RSRC2:SCRATCH_EN: 0
; COMPUTE_PGM_RSRC2:USER_SGPR: 2
; COMPUTE_PGM_RSRC2:TRAP_HANDLER: 0
; COMPUTE_PGM_RSRC2:TGID_X_EN: 1
; COMPUTE_PGM_RSRC2:TGID_Y_EN: 0
; COMPUTE_PGM_RSRC2:TGID_Z_EN: 0
; COMPUTE_PGM_RSRC2:TIDIG_COMP_CNT: 0
	.text
	.p2alignl 7, 3214868480
	.fill 96, 4, 3214868480
	.section	.AMDGPU.gpr_maximums,"",@progbits
	.set amdgpu.max_num_vgpr, 0
	.set amdgpu.max_num_agpr, 0
	.set amdgpu.max_num_sgpr, 0
	.text
	.type	__hip_cuid_2ad4520e75076953,@object ; @__hip_cuid_2ad4520e75076953
	.section	.bss,"aw",@nobits
	.globl	__hip_cuid_2ad4520e75076953
__hip_cuid_2ad4520e75076953:
	.byte	0                               ; 0x0
	.size	__hip_cuid_2ad4520e75076953, 1

	.ident	"AMD clang version 22.0.0git (https://github.com/RadeonOpenCompute/llvm-project roc-7.2.4 26084 f58b06dce1f9c15707c5f808fd002e18c2accf7e)"
	.section	".note.GNU-stack","",@progbits
	.addrsig
	.addrsig_sym __hip_cuid_2ad4520e75076953
	.amdgpu_metadata
---
amdhsa.kernels:
  - .args:
      - .offset:         0
        .size:           4
        .value_kind:     by_value
      - .offset:         8
        .size:           8
        .value_kind:     by_value
      - .actual_access:  read_only
        .address_space:  global
        .offset:         16
        .size:           8
        .value_kind:     global_buffer
      - .actual_access:  read_only
        .address_space:  global
        .offset:         24
        .size:           8
        .value_kind:     global_buffer
      - .actual_access:  read_only
        .address_space:  global
        .offset:         32
        .size:           8
        .value_kind:     global_buffer
      - .actual_access:  read_only
        .address_space:  global
        .offset:         40
        .size:           8
        .value_kind:     global_buffer
      - .actual_access:  read_only
        .address_space:  global
        .offset:         48
        .size:           8
        .value_kind:     global_buffer
      - .actual_access:  read_only
        .address_space:  global
        .offset:         56
        .size:           8
        .value_kind:     global_buffer
      - .actual_access:  read_only
        .address_space:  global
        .offset:         64
        .size:           8
        .value_kind:     global_buffer
      - .actual_access:  write_only
        .address_space:  global
        .offset:         72
        .size:           8
        .value_kind:     global_buffer
      - .actual_access:  write_only
        .address_space:  global
        .offset:         80
        .size:           8
        .value_kind:     global_buffer
      - .offset:         88
        .size:           4
        .value_kind:     hidden_block_count_x
      - .offset:         92
        .size:           4
        .value_kind:     hidden_block_count_y
      - .offset:         96
        .size:           4
        .value_kind:     hidden_block_count_z
      - .offset:         100
        .size:           2
        .value_kind:     hidden_group_size_x
      - .offset:         102
        .size:           2
        .value_kind:     hidden_group_size_y
      - .offset:         104
        .size:           2
        .value_kind:     hidden_group_size_z
      - .offset:         106
        .size:           2
        .value_kind:     hidden_remainder_x
      - .offset:         108
        .size:           2
        .value_kind:     hidden_remainder_y
      - .offset:         110
        .size:           2
        .value_kind:     hidden_remainder_z
      - .offset:         128
        .size:           8
        .value_kind:     hidden_global_offset_x
      - .offset:         136
        .size:           8
        .value_kind:     hidden_global_offset_y
      - .offset:         144
        .size:           8
        .value_kind:     hidden_global_offset_z
      - .offset:         152
        .size:           2
        .value_kind:     hidden_grid_dims
    .group_segment_fixed_size: 0
    .kernarg_segment_align: 8
    .kernarg_segment_size: 344
    .language:       OpenCL C
    .language_version:
      - 2
      - 0
    .max_flat_workgroup_size: 1024
    .name:           _Z21gpu_apply_hamiltonianidPKiS0_PKdS2_S2_S2_S2_PdS3_
    .private_segment_fixed_size: 0
    .sgpr_count:     17
    .sgpr_spill_count: 0
    .symbol:         _Z21gpu_apply_hamiltonianidPKiS0_PKdS2_S2_S2_S2_PdS3_.kd
    .uniform_work_group_size: 1
    .uses_dynamic_stack: false
    .vgpr_count:     22
    .vgpr_spill_count: 0
    .wavefront_size: 32
  - .args:
      - .offset:         0
        .size:           4
        .value_kind:     by_value
      - .offset:         8
        .size:           8
        .value_kind:     by_value
      - .address_space:  global
        .offset:         16
        .size:           8
        .value_kind:     global_buffer
      - .address_space:  global
        .offset:         24
        .size:           8
        .value_kind:     global_buffer
      - .address_space:  global
        .offset:         32
        .size:           8
        .value_kind:     global_buffer
      - .address_space:  global
        .offset:         40
        .size:           8
        .value_kind:     global_buffer
      - .address_space:  global
        .offset:         48
        .size:           8
        .value_kind:     global_buffer
      - .address_space:  global
        .offset:         56
        .size:           8
        .value_kind:     global_buffer
      - .address_space:  global
        .offset:         64
        .size:           8
        .value_kind:     global_buffer
      - .address_space:  global
        .offset:         72
        .size:           8
        .value_kind:     global_buffer
      - .address_space:  global
        .offset:         80
        .size:           8
        .value_kind:     global_buffer
      - .offset:         88
        .size:           4
        .value_kind:     hidden_block_count_x
      - .offset:         92
        .size:           4
        .value_kind:     hidden_block_count_y
      - .offset:         96
        .size:           4
        .value_kind:     hidden_block_count_z
      - .offset:         100
        .size:           2
        .value_kind:     hidden_group_size_x
      - .offset:         102
        .size:           2
        .value_kind:     hidden_group_size_y
      - .offset:         104
        .size:           2
        .value_kind:     hidden_group_size_z
      - .offset:         106
        .size:           2
        .value_kind:     hidden_remainder_x
      - .offset:         108
        .size:           2
        .value_kind:     hidden_remainder_y
      - .offset:         110
        .size:           2
        .value_kind:     hidden_remainder_z
      - .offset:         128
        .size:           8
        .value_kind:     hidden_global_offset_x
      - .offset:         136
        .size:           8
        .value_kind:     hidden_global_offset_y
      - .offset:         144
        .size:           8
        .value_kind:     hidden_global_offset_z
      - .offset:         152
        .size:           2
        .value_kind:     hidden_grid_dims
    .group_segment_fixed_size: 0
    .kernarg_segment_align: 8
    .kernarg_segment_size: 344
    .language:       OpenCL C
    .language_version:
      - 2
      - 0
    .max_flat_workgroup_size: 1024
    .name:           _Z20gpu_apply_commutatoridPiS_PdS0_S0_S0_S0_S0_S0_
    .private_segment_fixed_size: 0
    .sgpr_count:     22
    .sgpr_spill_count: 0
    .symbol:         _Z20gpu_apply_commutatoridPiS_PdS0_S0_S0_S0_S0_S0_.kd
    .uniform_work_group_size: 1
    .uses_dynamic_stack: false
    .vgpr_count:     22
    .vgpr_spill_count: 0
    .wavefront_size: 32
  - .args:
      - .offset:         0
        .size:           4
        .value_kind:     by_value
      - .actual_access:  read_only
        .address_space:  global
        .offset:         8
        .size:           8
        .value_kind:     global_buffer
      - .actual_access:  read_only
        .address_space:  global
        .offset:         16
        .size:           8
        .value_kind:     global_buffer
      - .actual_access:  read_only
        .address_space:  global
        .offset:         24
        .size:           8
        .value_kind:     global_buffer
      - .actual_access:  read_only
        .address_space:  global
        .offset:         32
        .size:           8
        .value_kind:     global_buffer
      - .actual_access:  read_only
        .address_space:  global
        .offset:         40
        .size:           8
        .value_kind:     global_buffer
      - .actual_access:  read_only
        .address_space:  global
        .offset:         48
        .size:           8
        .value_kind:     global_buffer
      - .actual_access:  read_only
        .address_space:  global
        .offset:         56
        .size:           8
        .value_kind:     global_buffer
      - .actual_access:  write_only
        .address_space:  global
        .offset:         64
        .size:           8
        .value_kind:     global_buffer
      - .actual_access:  write_only
        .address_space:  global
        .offset:         72
        .size:           8
        .value_kind:     global_buffer
      - .offset:         80
        .size:           4
        .value_kind:     hidden_block_count_x
      - .offset:         84
        .size:           4
        .value_kind:     hidden_block_count_y
      - .offset:         88
        .size:           4
        .value_kind:     hidden_block_count_z
      - .offset:         92
        .size:           2
        .value_kind:     hidden_group_size_x
      - .offset:         94
        .size:           2
        .value_kind:     hidden_group_size_y
      - .offset:         96
        .size:           2
        .value_kind:     hidden_group_size_z
      - .offset:         98
        .size:           2
        .value_kind:     hidden_remainder_x
      - .offset:         100
        .size:           2
        .value_kind:     hidden_remainder_y
      - .offset:         102
        .size:           2
        .value_kind:     hidden_remainder_z
      - .offset:         120
        .size:           8
        .value_kind:     hidden_global_offset_x
      - .offset:         128
        .size:           8
        .value_kind:     hidden_global_offset_y
      - .offset:         136
        .size:           8
        .value_kind:     hidden_global_offset_z
      - .offset:         144
        .size:           2
        .value_kind:     hidden_grid_dims
    .group_segment_fixed_size: 0
    .kernarg_segment_align: 8
    .kernarg_segment_size: 336
    .language:       OpenCL C
    .language_version:
      - 2
      - 0
    .max_flat_workgroup_size: 1024
    .name:           _Z17gpu_apply_currentiPKiS0_PKdS2_S2_S2_S2_PdS3_
    .private_segment_fixed_size: 0
    .sgpr_count:     19
    .sgpr_spill_count: 0
    .symbol:         _Z17gpu_apply_currentiPKiS0_PKdS2_S2_S2_S2_PdS3_.kd
    .uniform_work_group_size: 1
    .uses_dynamic_stack: false
    .vgpr_count:     20
    .vgpr_spill_count: 0
    .wavefront_size: 32
  - .args:
      - .offset:         0
        .size:           4
        .value_kind:     by_value
      - .actual_access:  read_only
        .address_space:  global
        .offset:         8
        .size:           8
        .value_kind:     global_buffer
      - .actual_access:  read_only
        .address_space:  global
        .offset:         16
        .size:           8
        .value_kind:     global_buffer
      - .actual_access:  read_only
        .address_space:  global
        .offset:         24
        .size:           8
        .value_kind:     global_buffer
      - .actual_access:  read_only
        .address_space:  global
        .offset:         32
        .size:           8
        .value_kind:     global_buffer
      - .actual_access:  write_only
        .address_space:  global
        .offset:         40
        .size:           8
        .value_kind:     global_buffer
      - .actual_access:  write_only
        .address_space:  global
        .offset:         48
        .size:           8
        .value_kind:     global_buffer
      - .offset:         56
        .size:           8
        .value_kind:     by_value
      - .offset:         64
        .size:           8
        .value_kind:     by_value
      - .offset:         72
        .size:           4
        .value_kind:     by_value
      - .offset:         80
        .size:           4
        .value_kind:     hidden_block_count_x
      - .offset:         84
        .size:           4
        .value_kind:     hidden_block_count_y
      - .offset:         88
        .size:           4
        .value_kind:     hidden_block_count_z
      - .offset:         92
        .size:           2
        .value_kind:     hidden_group_size_x
      - .offset:         94
        .size:           2
        .value_kind:     hidden_group_size_y
      - .offset:         96
        .size:           2
        .value_kind:     hidden_group_size_z
      - .offset:         98
        .size:           2
        .value_kind:     hidden_remainder_x
      - .offset:         100
        .size:           2
        .value_kind:     hidden_remainder_y
      - .offset:         102
        .size:           2
        .value_kind:     hidden_remainder_z
      - .offset:         120
        .size:           8
        .value_kind:     hidden_global_offset_x
      - .offset:         128
        .size:           8
        .value_kind:     hidden_global_offset_y
      - .offset:         136
        .size:           8
        .value_kind:     hidden_global_offset_z
      - .offset:         144
        .size:           2
        .value_kind:     hidden_grid_dims
    .group_segment_fixed_size: 0
    .kernarg_segment_align: 8
    .kernarg_segment_size: 336
    .language:       OpenCL C
    .language_version:
      - 2
      - 0
    .max_flat_workgroup_size: 1024
    .name:           _Z16gpu_chebyshev_01iPKdS0_S0_S0_PdS1_ddi
    .private_segment_fixed_size: 0
    .sgpr_count:     12
    .sgpr_spill_count: 0
    .symbol:         _Z16gpu_chebyshev_01iPKdS0_S0_S0_PdS1_ddi.kd
    .uniform_work_group_size: 1
    .uses_dynamic_stack: false
    .vgpr_count:     12
    .vgpr_spill_count: 0
    .wavefront_size: 32
  - .args:
      - .offset:         0
        .size:           4
        .value_kind:     by_value
      - .offset:         8
        .size:           8
        .value_kind:     by_value
      - .actual_access:  read_only
        .address_space:  global
        .offset:         16
        .size:           8
        .value_kind:     global_buffer
      - .actual_access:  read_only
        .address_space:  global
        .offset:         24
        .size:           8
        .value_kind:     global_buffer
      - .actual_access:  read_only
        .address_space:  global
        .offset:         32
        .size:           8
        .value_kind:     global_buffer
      - .actual_access:  read_only
        .address_space:  global
        .offset:         40
        .size:           8
        .value_kind:     global_buffer
      - .actual_access:  read_only
        .address_space:  global
        .offset:         48
        .size:           8
        .value_kind:     global_buffer
      - .actual_access:  read_only
        .address_space:  global
        .offset:         56
        .size:           8
        .value_kind:     global_buffer
      - .actual_access:  read_only
        .address_space:  global
        .offset:         64
        .size:           8
        .value_kind:     global_buffer
      - .actual_access:  read_only
        .address_space:  global
        .offset:         72
        .size:           8
        .value_kind:     global_buffer
      - .actual_access:  read_only
        .address_space:  global
        .offset:         80
        .size:           8
        .value_kind:     global_buffer
      - .actual_access:  write_only
        .address_space:  global
        .offset:         88
        .size:           8
        .value_kind:     global_buffer
      - .actual_access:  write_only
        .address_space:  global
        .offset:         96
        .size:           8
        .value_kind:     global_buffer
      - .address_space:  global
        .offset:         104
        .size:           8
        .value_kind:     global_buffer
      - .address_space:  global
        .offset:         112
        .size:           8
        .value_kind:     global_buffer
      - .offset:         120
        .size:           8
        .value_kind:     by_value
      - .offset:         128
        .size:           4
        .value_kind:     by_value
      - .offset:         136
        .size:           4
        .value_kind:     hidden_block_count_x
      - .offset:         140
        .size:           4
        .value_kind:     hidden_block_count_y
      - .offset:         144
        .size:           4
        .value_kind:     hidden_block_count_z
      - .offset:         148
        .size:           2
        .value_kind:     hidden_group_size_x
      - .offset:         150
        .size:           2
        .value_kind:     hidden_group_size_y
      - .offset:         152
        .size:           2
        .value_kind:     hidden_group_size_z
      - .offset:         154
        .size:           2
        .value_kind:     hidden_remainder_x
      - .offset:         156
        .size:           2
        .value_kind:     hidden_remainder_y
      - .offset:         158
        .size:           2
        .value_kind:     hidden_remainder_z
      - .offset:         176
        .size:           8
        .value_kind:     hidden_global_offset_x
      - .offset:         184
        .size:           8
        .value_kind:     hidden_global_offset_y
      - .offset:         192
        .size:           8
        .value_kind:     hidden_global_offset_z
      - .offset:         200
        .size:           2
        .value_kind:     hidden_grid_dims
    .group_segment_fixed_size: 0
    .kernarg_segment_align: 8
    .kernarg_segment_size: 392
    .language:       OpenCL C
    .language_version:
      - 2
      - 0
    .max_flat_workgroup_size: 1024
    .name:           _Z15gpu_chebyshev_2idPKiS0_PKdS2_S2_S2_S2_S2_S2_PdS3_S3_S3_di
    .private_segment_fixed_size: 0
    .sgpr_count:     21
    .sgpr_spill_count: 0
    .symbol:         _Z15gpu_chebyshev_2idPKiS0_PKdS2_S2_S2_S2_S2_S2_PdS3_S3_S3_di.kd
    .uniform_work_group_size: 1
    .uses_dynamic_stack: false
    .vgpr_count:     26
    .vgpr_spill_count: 0
    .wavefront_size: 32
  - .args:
      - .offset:         0
        .size:           4
        .value_kind:     by_value
      - .actual_access:  read_only
        .address_space:  global
        .offset:         8
        .size:           8
        .value_kind:     global_buffer
      - .actual_access:  read_only
        .address_space:  global
        .offset:         16
        .size:           8
        .value_kind:     global_buffer
      - .actual_access:  write_only
        .address_space:  global
        .offset:         24
        .size:           8
        .value_kind:     global_buffer
      - .actual_access:  write_only
        .address_space:  global
        .offset:         32
        .size:           8
        .value_kind:     global_buffer
      - .offset:         40
        .size:           8
        .value_kind:     by_value
      - .offset:         48
        .size:           4
        .value_kind:     hidden_block_count_x
      - .offset:         52
        .size:           4
        .value_kind:     hidden_block_count_y
      - .offset:         56
        .size:           4
        .value_kind:     hidden_block_count_z
      - .offset:         60
        .size:           2
        .value_kind:     hidden_group_size_x
      - .offset:         62
        .size:           2
        .value_kind:     hidden_group_size_y
      - .offset:         64
        .size:           2
        .value_kind:     hidden_group_size_z
      - .offset:         66
        .size:           2
        .value_kind:     hidden_remainder_x
      - .offset:         68
        .size:           2
        .value_kind:     hidden_remainder_y
      - .offset:         70
        .size:           2
        .value_kind:     hidden_remainder_z
      - .offset:         88
        .size:           8
        .value_kind:     hidden_global_offset_x
      - .offset:         96
        .size:           8
        .value_kind:     hidden_global_offset_y
      - .offset:         104
        .size:           8
        .value_kind:     hidden_global_offset_z
      - .offset:         112
        .size:           2
        .value_kind:     hidden_grid_dims
    .group_segment_fixed_size: 0
    .kernarg_segment_align: 8
    .kernarg_segment_size: 304
    .language:       OpenCL C
    .language_version:
      - 2
      - 0
    .max_flat_workgroup_size: 1024
    .name:           _Z16gpu_chebyshev_1xiPKdS0_PdS1_d
    .private_segment_fixed_size: 0
    .sgpr_count:     12
    .sgpr_spill_count: 0
    .symbol:         _Z16gpu_chebyshev_1xiPKdS0_PdS1_d.kd
    .uniform_work_group_size: 1
    .uses_dynamic_stack: false
    .vgpr_count:     6
    .vgpr_spill_count: 0
    .wavefront_size: 32
  - .args:
      - .offset:         0
        .size:           4
        .value_kind:     by_value
      - .offset:         8
        .size:           8
        .value_kind:     by_value
      - .actual_access:  read_only
        .address_space:  global
        .offset:         16
        .size:           8
        .value_kind:     global_buffer
      - .actual_access:  read_only
        .address_space:  global
        .offset:         24
        .size:           8
        .value_kind:     global_buffer
      - .actual_access:  read_only
        .address_space:  global
        .offset:         32
        .size:           8
        .value_kind:     global_buffer
      - .actual_access:  read_only
        .address_space:  global
        .offset:         40
        .size:           8
        .value_kind:     global_buffer
      - .actual_access:  read_only
        .address_space:  global
        .offset:         48
        .size:           8
        .value_kind:     global_buffer
      - .actual_access:  read_only
        .address_space:  global
        .offset:         56
        .size:           8
        .value_kind:     global_buffer
      - .actual_access:  read_only
        .address_space:  global
        .offset:         64
        .size:           8
        .value_kind:     global_buffer
      - .actual_access:  read_only
        .address_space:  global
        .offset:         72
        .size:           8
        .value_kind:     global_buffer
      - .actual_access:  read_only
        .address_space:  global
        .offset:         80
        .size:           8
        .value_kind:     global_buffer
      - .actual_access:  read_only
        .address_space:  global
        .offset:         88
        .size:           8
        .value_kind:     global_buffer
      - .actual_access:  read_only
        .address_space:  global
        .offset:         96
        .size:           8
        .value_kind:     global_buffer
      - .actual_access:  read_only
        .address_space:  global
        .offset:         104
        .size:           8
        .value_kind:     global_buffer
      - .actual_access:  read_only
        .address_space:  global
        .offset:         112
        .size:           8
        .value_kind:     global_buffer
      - .actual_access:  read_only
        .address_space:  global
        .offset:         120
        .size:           8
        .value_kind:     global_buffer
      - .actual_access:  write_only
        .address_space:  global
        .offset:         128
        .size:           8
        .value_kind:     global_buffer
      - .actual_access:  write_only
        .address_space:  global
        .offset:         136
        .size:           8
        .value_kind:     global_buffer
      - .actual_access:  write_only
        .address_space:  global
        .offset:         144
        .size:           8
        .value_kind:     global_buffer
      - .actual_access:  write_only
        .address_space:  global
        .offset:         152
        .size:           8
        .value_kind:     global_buffer
      - .address_space:  global
        .offset:         160
        .size:           8
        .value_kind:     global_buffer
      - .address_space:  global
        .offset:         168
        .size:           8
        .value_kind:     global_buffer
      - .offset:         176
        .size:           8
        .value_kind:     by_value
      - .offset:         184
        .size:           4
        .value_kind:     by_value
      - .offset:         192
        .size:           4
        .value_kind:     hidden_block_count_x
      - .offset:         196
        .size:           4
        .value_kind:     hidden_block_count_y
      - .offset:         200
        .size:           4
        .value_kind:     hidden_block_count_z
      - .offset:         204
        .size:           2
        .value_kind:     hidden_group_size_x
      - .offset:         206
        .size:           2
        .value_kind:     hidden_group_size_y
      - .offset:         208
        .size:           2
        .value_kind:     hidden_group_size_z
      - .offset:         210
        .size:           2
        .value_kind:     hidden_remainder_x
      - .offset:         212
        .size:           2
        .value_kind:     hidden_remainder_y
      - .offset:         214
        .size:           2
        .value_kind:     hidden_remainder_z
      - .offset:         232
        .size:           8
        .value_kind:     hidden_global_offset_x
      - .offset:         240
        .size:           8
        .value_kind:     hidden_global_offset_y
      - .offset:         248
        .size:           8
        .value_kind:     hidden_global_offset_z
      - .offset:         256
        .size:           2
        .value_kind:     hidden_grid_dims
    .group_segment_fixed_size: 0
    .kernarg_segment_align: 8
    .kernarg_segment_size: 448
    .language:       OpenCL C
    .language_version:
      - 2
      - 0
    .max_flat_workgroup_size: 1024
    .name:           _Z16gpu_chebyshev_2xidPKiS0_PKdS2_S2_S2_S2_S2_S2_S2_S2_S2_S2_S2_PdS3_S3_S3_S3_S3_di
    .private_segment_fixed_size: 0
    .sgpr_count:     30
    .sgpr_spill_count: 0
    .symbol:         _Z16gpu_chebyshev_2xidPKiS0_PKdS2_S2_S2_S2_S2_S2_S2_S2_S2_S2_S2_PdS3_S3_S3_S3_S3_di.kd
    .uniform_work_group_size: 1
    .uses_dynamic_stack: false
    .vgpr_count:     50
    .vgpr_spill_count: 0
    .wavefront_size: 32
  - .args:
      - .offset:         0
        .size:           4
        .value_kind:     by_value
      - .offset:         8
        .size:           8
        .value_kind:     by_value
      - .actual_access:  read_only
        .address_space:  global
        .offset:         16
        .size:           8
        .value_kind:     global_buffer
      - .actual_access:  read_only
        .address_space:  global
        .offset:         24
        .size:           8
        .value_kind:     global_buffer
      - .actual_access:  read_only
        .address_space:  global
        .offset:         32
        .size:           8
        .value_kind:     global_buffer
      - .actual_access:  read_only
        .address_space:  global
        .offset:         40
        .size:           8
        .value_kind:     global_buffer
      - .actual_access:  read_only
        .address_space:  global
        .offset:         48
        .size:           8
        .value_kind:     global_buffer
      - .actual_access:  read_only
        .address_space:  global
        .offset:         56
        .size:           8
        .value_kind:     global_buffer
      - .actual_access:  read_only
        .address_space:  global
        .offset:         64
        .size:           8
        .value_kind:     global_buffer
      - .actual_access:  read_only
        .address_space:  global
        .offset:         72
        .size:           8
        .value_kind:     global_buffer
      - .actual_access:  read_only
        .address_space:  global
        .offset:         80
        .size:           8
        .value_kind:     global_buffer
      - .actual_access:  write_only
        .address_space:  global
        .offset:         88
        .size:           8
        .value_kind:     global_buffer
      - .actual_access:  write_only
        .address_space:  global
        .offset:         96
        .size:           8
        .value_kind:     global_buffer
      - .offset:         104
        .size:           4
        .value_kind:     hidden_block_count_x
      - .offset:         108
        .size:           4
        .value_kind:     hidden_block_count_y
      - .offset:         112
        .size:           4
        .value_kind:     hidden_block_count_z
      - .offset:         116
        .size:           2
        .value_kind:     hidden_group_size_x
      - .offset:         118
        .size:           2
        .value_kind:     hidden_group_size_y
      - .offset:         120
        .size:           2
        .value_kind:     hidden_group_size_z
      - .offset:         122
        .size:           2
        .value_kind:     hidden_remainder_x
      - .offset:         124
        .size:           2
        .value_kind:     hidden_remainder_y
      - .offset:         126
        .size:           2
        .value_kind:     hidden_remainder_z
      - .offset:         144
        .size:           8
        .value_kind:     hidden_global_offset_x
      - .offset:         152
        .size:           8
        .value_kind:     hidden_global_offset_y
      - .offset:         160
        .size:           8
        .value_kind:     hidden_global_offset_z
      - .offset:         168
        .size:           2
        .value_kind:     hidden_grid_dims
    .group_segment_fixed_size: 0
    .kernarg_segment_align: 8
    .kernarg_segment_size: 360
    .language:       OpenCL C
    .language_version:
      - 2
      - 0
    .max_flat_workgroup_size: 1024
    .name:           _Z21gpu_kernel_polynomialidPKiS0_PKdS2_S2_S2_S2_S2_S2_PdS3_
    .private_segment_fixed_size: 0
    .sgpr_count:     17
    .sgpr_spill_count: 0
    .symbol:         _Z21gpu_kernel_polynomialidPKiS0_PKdS2_S2_S2_S2_S2_S2_PdS3_.kd
    .uniform_work_group_size: 1
    .uses_dynamic_stack: false
    .vgpr_count:     26
    .vgpr_spill_count: 0
    .wavefront_size: 32
amdhsa.target:   amdgcn-amd-amdhsa--gfx1250
amdhsa.version:
  - 1
  - 2
...

	.end_amdgpu_metadata
